;; amdgpu-corpus repo=ROCm/rocFFT kind=compiled arch=gfx906 opt=O3
	.text
	.amdgcn_target "amdgcn-amd-amdhsa--gfx906"
	.amdhsa_code_object_version 6
	.protected	bluestein_single_fwd_len624_dim1_half_op_CI_CI ; -- Begin function bluestein_single_fwd_len624_dim1_half_op_CI_CI
	.globl	bluestein_single_fwd_len624_dim1_half_op_CI_CI
	.p2align	8
	.type	bluestein_single_fwd_len624_dim1_half_op_CI_CI,@function
bluestein_single_fwd_len624_dim1_half_op_CI_CI: ; @bluestein_single_fwd_len624_dim1_half_op_CI_CI
; %bb.0:
	s_load_dwordx4 s[0:3], s[4:5], 0x28
	v_mul_u32_u24_e32 v1, 0x4ed, v0
	v_add_u32_sdwa v13, s6, v1 dst_sel:DWORD dst_unused:UNUSED_PAD src0_sel:DWORD src1_sel:WORD_1
	v_mov_b32_e32 v14, 0
	s_waitcnt lgkmcnt(0)
	v_cmp_gt_u64_e32 vcc, s[0:1], v[13:14]
	s_and_saveexec_b64 s[0:1], vcc
	s_cbranch_execz .LBB0_15
; %bb.1:
	s_load_dwordx2 s[6:7], s[4:5], 0x0
	s_load_dwordx2 s[12:13], s[4:5], 0x38
	v_mov_b32_e32 v2, 52
	v_mul_lo_u16_sdwa v1, v1, v2 dst_sel:DWORD dst_unused:UNUSED_PAD src0_sel:WORD_1 src1_sel:DWORD
	v_sub_u16_e32 v26, v0, v1
	v_cmp_gt_u16_e32 vcc, 48, v26
	v_lshlrev_b32_e32 v27, 2, v26
	s_and_saveexec_b64 s[14:15], vcc
	s_cbranch_execz .LBB0_3
; %bb.2:
	s_load_dwordx2 s[0:1], s[4:5], 0x18
	v_or_b32_e32 v10, 0xc0, v26
	s_waitcnt lgkmcnt(0)
	s_load_dwordx4 s[8:11], s[0:1], 0x0
	s_waitcnt lgkmcnt(0)
	v_mad_u64_u32 v[0:1], s[0:1], s10, v13, 0
	v_mad_u64_u32 v[2:3], s[0:1], s8, v26, 0
	s_mul_i32 s10, s9, 0x180
	v_mad_u64_u32 v[4:5], s[0:1], s11, v13, v[1:2]
	v_mad_u64_u32 v[5:6], s[0:1], s9, v26, v[3:4]
	v_mov_b32_e32 v1, v4
	v_lshlrev_b64 v[0:1], 2, v[0:1]
	v_mov_b32_e32 v3, v5
	v_mov_b32_e32 v6, s3
	v_lshlrev_b64 v[2:3], 2, v[2:3]
	v_add_co_u32_e64 v12, s[0:1], s2, v0
	v_addc_co_u32_e64 v14, s[0:1], v6, v1, s[0:1]
	v_add_co_u32_e64 v0, s[0:1], v12, v2
	v_addc_co_u32_e64 v1, s[0:1], v14, v3, s[0:1]
	s_mul_i32 s0, s9, 0xc0
	s_mul_hi_u32 s3, s8, 0xc0
	s_add_i32 s3, s3, s0
	s_mul_i32 s2, s8, 0xc0
	v_mov_b32_e32 v3, s3
	v_add_co_u32_e64 v2, s[0:1], s2, v0
	v_addc_co_u32_e64 v3, s[0:1], v1, v3, s[0:1]
	v_mov_b32_e32 v5, s3
	v_add_co_u32_e64 v4, s[0:1], s2, v2
	v_addc_co_u32_e64 v5, s[0:1], v3, v5, s[0:1]
	v_mad_u64_u32 v[6:7], s[0:1], s8, v10, 0
	v_mov_b32_e32 v9, s3
	v_add_co_u32_e64 v8, s[0:1], s2, v4
	v_addc_co_u32_e64 v9, s[0:1], v5, v9, s[0:1]
	v_mad_u64_u32 v[10:11], s[0:1], s9, v10, v[7:8]
	global_load_dword v11, v[0:1], off
	global_load_dword v15, v27, s[6:7]
	global_load_dword v16, v27, s[6:7] offset:192
	global_load_dword v17, v27, s[6:7] offset:384
	;; [unrolled: 1-line block ×3, first 2 shown]
	v_mov_b32_e32 v29, s3
	v_mov_b32_e32 v7, v10
	v_lshlrev_b64 v[0:1], 2, v[6:7]
	global_load_dword v6, v[2:3], off
	v_add_co_u32_e64 v0, s[0:1], v12, v0
	v_addc_co_u32_e64 v1, s[0:1], v14, v1, s[0:1]
	v_mov_b32_e32 v7, 0x180
	global_load_dword v10, v[4:5], off
	global_load_dword v19, v[8:9], off
	;; [unrolled: 1-line block ×3, first 2 shown]
	v_mad_u64_u32 v[2:3], s[0:1], s8, v7, v[8:9]
	v_mov_b32_e32 v1, s3
	v_or_b32_e32 v5, 0x180, v26
	v_add_u32_e32 v3, s10, v3
	v_add_co_u32_e64 v0, s[0:1], s2, v2
	global_load_dword v8, v[2:3], off
	v_addc_co_u32_e64 v1, s[0:1], v3, v1, s[0:1]
	v_mad_u64_u32 v[2:3], s[0:1], s8, v5, 0
	global_load_dword v21, v27, s[6:7] offset:768
	global_load_dword v22, v27, s[6:7] offset:960
	global_load_dword v9, v[0:1], off
	v_mov_b32_e32 v4, s3
	v_add_co_u32_e64 v0, s[0:1], s2, v0
	v_addc_co_u32_e64 v1, s[0:1], v1, v4, s[0:1]
	v_mad_u64_u32 v[3:4], s[0:1], s9, v5, v[3:4]
	global_load_dword v23, v[0:1], off
	global_load_dword v24, v27, s[6:7] offset:1152
	global_load_dword v25, v27, s[6:7] offset:1344
	v_mad_u64_u32 v[0:1], s[0:1], s8, v7, v[0:1]
	v_lshlrev_b64 v[2:3], 2, v[2:3]
	v_or_b32_e32 v7, 0x240, v26
	v_add_co_u32_e64 v2, s[0:1], v12, v2
	v_addc_co_u32_e64 v3, s[0:1], v14, v3, s[0:1]
	v_mad_u64_u32 v[4:5], s[0:1], s8, v7, 0
	global_load_dword v28, v[2:3], off
	global_load_dword v30, v27, s[6:7] offset:1536
	v_mov_b32_e32 v2, v5
	v_add_u32_e32 v1, s10, v1
	v_mad_u64_u32 v[2:3], s[0:1], s9, v7, v[2:3]
	global_load_dword v3, v[0:1], off
	global_load_dword v7, v27, s[6:7] offset:1728
	v_add_co_u32_e64 v0, s[0:1], s2, v0
	v_addc_co_u32_e64 v1, s[0:1], v1, v29, s[0:1]
	v_mov_b32_e32 v5, v2
	global_load_dword v2, v[0:1], off
	global_load_dword v31, v27, s[6:7] offset:1920
	v_add_co_u32_e64 v0, s[0:1], s2, v0
	v_addc_co_u32_e64 v1, s[0:1], v1, v29, s[0:1]
	global_load_dword v29, v[0:1], off
	v_lshlrev_b64 v[0:1], 2, v[4:5]
	global_load_dword v4, v27, s[6:7] offset:2112
	v_add_co_u32_e64 v0, s[0:1], v12, v0
	v_addc_co_u32_e64 v1, s[0:1], v14, v1, s[0:1]
	global_load_dword v14, v[0:1], off
	global_load_dword v32, v27, s[6:7] offset:2304
	s_waitcnt vmcnt(25)
	v_lshrrev_b32_e32 v5, 16, v11
	s_waitcnt vmcnt(24)
	v_mul_f16_sdwa v12, v15, v5 dst_sel:DWORD dst_unused:UNUSED_PAD src0_sel:WORD_1 src1_sel:DWORD
	v_mul_f16_sdwa v1, v15, v11 dst_sel:DWORD dst_unused:UNUSED_PAD src0_sel:WORD_1 src1_sel:DWORD
	v_fma_f16 v0, v15, v11, v12
	v_fma_f16 v1, v15, v5, -v1
	v_pack_b32_f16 v0, v0, v1
	s_waitcnt vmcnt(20)
	v_lshrrev_b32_e32 v1, 16, v6
	v_mul_f16_sdwa v5, v16, v1 dst_sel:DWORD dst_unused:UNUSED_PAD src0_sel:WORD_1 src1_sel:DWORD
	v_fma_f16 v5, v16, v6, v5
	v_mul_f16_sdwa v6, v16, v6 dst_sel:DWORD dst_unused:UNUSED_PAD src0_sel:WORD_1 src1_sel:DWORD
	v_fma_f16 v1, v16, v1, -v6
	v_pack_b32_f16 v1, v5, v1
	ds_write2_b32 v27, v0, v1 offset1:48
	s_waitcnt vmcnt(19)
	v_lshrrev_b32_e32 v0, 16, v10
	v_mul_f16_sdwa v1, v17, v0 dst_sel:DWORD dst_unused:UNUSED_PAD src0_sel:WORD_1 src1_sel:DWORD
	v_mul_f16_sdwa v5, v17, v10 dst_sel:DWORD dst_unused:UNUSED_PAD src0_sel:WORD_1 src1_sel:DWORD
	v_fma_f16 v1, v17, v10, v1
	v_fma_f16 v0, v17, v0, -v5
	v_pack_b32_f16 v0, v1, v0
	s_waitcnt vmcnt(18)
	v_lshrrev_b32_e32 v1, 16, v19
	v_mul_f16_sdwa v5, v18, v1 dst_sel:DWORD dst_unused:UNUSED_PAD src0_sel:WORD_1 src1_sel:DWORD
	v_mul_f16_sdwa v6, v18, v19 dst_sel:DWORD dst_unused:UNUSED_PAD src0_sel:WORD_1 src1_sel:DWORD
	v_fma_f16 v5, v18, v19, v5
	v_fma_f16 v1, v18, v1, -v6
	v_pack_b32_f16 v1, v5, v1
	ds_write2_b32 v27, v0, v1 offset0:96 offset1:144
	s_waitcnt vmcnt(17)
	v_lshrrev_b32_e32 v0, 16, v20
	s_waitcnt vmcnt(15)
	v_mul_f16_sdwa v1, v21, v0 dst_sel:DWORD dst_unused:UNUSED_PAD src0_sel:WORD_1 src1_sel:DWORD
	v_mul_f16_sdwa v5, v21, v20 dst_sel:DWORD dst_unused:UNUSED_PAD src0_sel:WORD_1 src1_sel:DWORD
	v_fma_f16 v1, v21, v20, v1
	v_fma_f16 v0, v21, v0, -v5
	v_pack_b32_f16 v0, v1, v0
	v_lshrrev_b32_e32 v1, 16, v8
	s_waitcnt vmcnt(14)
	v_mul_f16_sdwa v5, v22, v1 dst_sel:DWORD dst_unused:UNUSED_PAD src0_sel:WORD_1 src1_sel:DWORD
	v_mul_f16_sdwa v6, v22, v8 dst_sel:DWORD dst_unused:UNUSED_PAD src0_sel:WORD_1 src1_sel:DWORD
	v_fma_f16 v5, v22, v8, v5
	v_fma_f16 v1, v22, v1, -v6
	v_pack_b32_f16 v1, v5, v1
	ds_write2_b32 v27, v0, v1 offset0:192 offset1:240
	s_waitcnt vmcnt(13)
	v_lshrrev_b32_e32 v0, 16, v9
	s_waitcnt vmcnt(11)
	v_mul_f16_sdwa v1, v24, v0 dst_sel:DWORD dst_unused:UNUSED_PAD src0_sel:WORD_1 src1_sel:DWORD
	v_mul_f16_sdwa v5, v24, v9 dst_sel:DWORD dst_unused:UNUSED_PAD src0_sel:WORD_1 src1_sel:DWORD
	v_fma_f16 v1, v24, v9, v1
	v_fma_f16 v0, v24, v0, -v5
	v_pack_b32_f16 v0, v1, v0
	v_lshrrev_b32_e32 v1, 16, v23
	s_waitcnt vmcnt(10)
	v_mul_f16_sdwa v5, v25, v1 dst_sel:DWORD dst_unused:UNUSED_PAD src0_sel:WORD_1 src1_sel:DWORD
	v_mul_f16_sdwa v6, v25, v23 dst_sel:DWORD dst_unused:UNUSED_PAD src0_sel:WORD_1 src1_sel:DWORD
	v_fma_f16 v5, v25, v23, v5
	v_fma_f16 v1, v25, v1, -v6
	v_pack_b32_f16 v1, v5, v1
	v_add_u32_e32 v5, 0x400, v27
	ds_write2_b32 v5, v0, v1 offset0:32 offset1:80
	s_waitcnt vmcnt(9)
	v_lshrrev_b32_e32 v0, 16, v28
	s_waitcnt vmcnt(8)
	v_mul_f16_sdwa v1, v30, v0 dst_sel:DWORD dst_unused:UNUSED_PAD src0_sel:WORD_1 src1_sel:DWORD
	v_mul_f16_sdwa v6, v30, v28 dst_sel:DWORD dst_unused:UNUSED_PAD src0_sel:WORD_1 src1_sel:DWORD
	v_fma_f16 v1, v30, v28, v1
	v_fma_f16 v0, v30, v0, -v6
	v_pack_b32_f16 v0, v1, v0
	s_waitcnt vmcnt(7)
	v_lshrrev_b32_e32 v1, 16, v3
	s_waitcnt vmcnt(6)
	v_mul_f16_sdwa v6, v7, v1 dst_sel:DWORD dst_unused:UNUSED_PAD src0_sel:WORD_1 src1_sel:DWORD
	v_fma_f16 v6, v7, v3, v6
	v_mul_f16_sdwa v3, v7, v3 dst_sel:DWORD dst_unused:UNUSED_PAD src0_sel:WORD_1 src1_sel:DWORD
	v_fma_f16 v1, v7, v1, -v3
	v_pack_b32_f16 v1, v6, v1
	ds_write2_b32 v5, v0, v1 offset0:128 offset1:176
	s_waitcnt vmcnt(5)
	v_lshrrev_b32_e32 v0, 16, v2
	s_waitcnt vmcnt(4)
	v_mul_f16_sdwa v1, v31, v0 dst_sel:DWORD dst_unused:UNUSED_PAD src0_sel:WORD_1 src1_sel:DWORD
	v_fma_f16 v1, v31, v2, v1
	v_mul_f16_sdwa v2, v31, v2 dst_sel:DWORD dst_unused:UNUSED_PAD src0_sel:WORD_1 src1_sel:DWORD
	v_fma_f16 v0, v31, v0, -v2
	v_pack_b32_f16 v0, v1, v0
	s_waitcnt vmcnt(3)
	v_lshrrev_b32_e32 v1, 16, v29
	s_waitcnt vmcnt(2)
	v_mul_f16_sdwa v2, v4, v1 dst_sel:DWORD dst_unused:UNUSED_PAD src0_sel:WORD_1 src1_sel:DWORD
	v_mul_f16_sdwa v3, v4, v29 dst_sel:DWORD dst_unused:UNUSED_PAD src0_sel:WORD_1 src1_sel:DWORD
	v_fma_f16 v2, v4, v29, v2
	v_fma_f16 v1, v4, v1, -v3
	v_pack_b32_f16 v1, v2, v1
	v_add_u32_e32 v2, 0x600, v27
	ds_write2_b32 v2, v0, v1 offset0:96 offset1:144
	s_waitcnt vmcnt(1)
	v_lshrrev_b32_e32 v0, 16, v14
	s_waitcnt vmcnt(0)
	v_mul_f16_sdwa v1, v32, v0 dst_sel:DWORD dst_unused:UNUSED_PAD src0_sel:WORD_1 src1_sel:DWORD
	v_mul_f16_sdwa v2, v32, v14 dst_sel:DWORD dst_unused:UNUSED_PAD src0_sel:WORD_1 src1_sel:DWORD
	v_fma_f16 v1, v32, v14, v1
	v_fma_f16 v0, v32, v0, -v2
	v_pack_b32_f16 v0, v1, v0
	ds_write_b32 v27, v0 offset:2304
.LBB0_3:
	s_or_b64 exec, exec, s[14:15]
	s_load_dwordx2 s[2:3], s[4:5], 0x20
	s_load_dwordx2 s[0:1], s[4:5], 0x8
	v_mov_b32_e32 v0, 0
	s_waitcnt lgkmcnt(0)
	; wave barrier
	s_waitcnt lgkmcnt(0)
                                        ; implicit-def: $vgpr12
                                        ; implicit-def: $vgpr5
                                        ; implicit-def: $vgpr3
                                        ; implicit-def: $vgpr9
                                        ; implicit-def: $vgpr7
                                        ; implicit-def: $vgpr11
	s_and_saveexec_b64 s[4:5], vcc
	s_cbranch_execz .LBB0_5
; %bb.4:
	ds_read2_b32 v[0:1], v27 offset1:48
	ds_read2_b32 v[10:11], v27 offset0:96 offset1:144
	ds_read2_b32 v[6:7], v27 offset0:192 offset1:240
	v_add_u32_e32 v2, 0x400, v27
	v_add_u32_e32 v4, 0x600, v27
	ds_read2_b32 v[8:9], v2 offset0:32 offset1:80
	ds_read2_b32 v[2:3], v2 offset0:128 offset1:176
	;; [unrolled: 1-line block ×3, first 2 shown]
	ds_read_b32 v12, v27 offset:2304
.LBB0_5:
	s_or_b64 exec, exec, s[4:5]
	s_waitcnt lgkmcnt(0)
	v_pk_add_f16 v14, v1, v12 neg_lo:[0,1] neg_hi:[0,1]
	s_mov_b32 s24, 0xb770
	v_pk_add_f16 v16, v12, v1
	s_movk_i32 s8, 0x3b15
	v_mul_f16_sdwa v28, v14, s24 dst_sel:DWORD dst_unused:UNUSED_PAD src0_sel:WORD_1 src1_sel:DWORD
	v_lshrrev_b32_e32 v37, 16, v16
	v_mul_f16_e32 v36, 0xb770, v14
	v_fma_f16 v15, v16, s8, v28
	v_add_f16_e32 v17, v15, v0
	v_fma_f16 v15, v37, s8, -v36
	v_add_f16_sdwa v19, v15, v0 dst_sel:DWORD dst_unused:UNUSED_PAD src0_sel:DWORD src1_sel:WORD_1
	v_pk_add_f16 v15, v10, v5 neg_lo:[0,1] neg_hi:[0,1]
	s_mov_b32 s22, 0xba95
	v_pk_add_f16 v18, v5, v10
	s_movk_i32 s9, 0x388b
	v_mul_f16_sdwa v29, v15, s22 dst_sel:DWORD dst_unused:UNUSED_PAD src0_sel:WORD_1 src1_sel:DWORD
	v_lshrrev_b32_e32 v40, 16, v18
	v_mul_f16_e32 v39, 0xba95, v15
	v_fma_f16 v20, v18, s9, v29
	v_add_f16_e32 v21, v20, v17
	v_fma_f16 v17, v40, s9, -v39
	v_add_f16_e32 v19, v17, v19
	v_pk_add_f16 v17, v11, v4 neg_lo:[0,1] neg_hi:[0,1]
	s_mov_b32 s23, 0xbbf1
	v_pk_add_f16 v20, v4, v11
	s_movk_i32 s10, 0x2fb7
	v_mul_f16_sdwa v33, v17, s23 dst_sel:DWORD dst_unused:UNUSED_PAD src0_sel:WORD_1 src1_sel:DWORD
	v_lshrrev_b32_e32 v42, 16, v20
	v_mul_f16_e32 v41, 0xbbf1, v17
	v_fma_f16 v22, v20, s10, v33
	v_add_f16_e32 v22, v22, v21
	v_fma_f16 v21, v42, s10, -v41
	v_add_f16_e32 v23, v21, v19
	s_mov_b32 s11, 0xbb7b
	v_pk_add_f16 v19, v6, v3 neg_lo:[0,1] neg_hi:[0,1]
	v_pk_add_f16 v21, v3, v6
	s_mov_b32 s14, 0xb5ac
	v_mul_f16_sdwa v34, v19, s11 dst_sel:DWORD dst_unused:UNUSED_PAD src0_sel:WORD_1 src1_sel:DWORD
	v_fma_f16 v24, v21, s14, v34
	v_lshrrev_b32_e32 v44, 16, v21
	v_mul_f16_e32 v43, 0xbb7b, v19
	v_add_f16_e32 v24, v24, v22
	v_fma_f16 v22, v44, s14, -v43
	v_add_f16_e32 v25, v22, v23
	s_mov_b32 s15, 0xb94e
	v_pk_add_f16 v22, v7, v2 neg_lo:[0,1] neg_hi:[0,1]
	s_mov_b32 s16, 0xb9fd
	v_pk_add_f16 v23, v2, v7
	v_mul_f16_sdwa v35, v22, s15 dst_sel:DWORD dst_unused:UNUSED_PAD src0_sel:WORD_1 src1_sel:DWORD
	v_fma_f16 v30, v23, s16, v35
	v_lshrrev_b32_e32 v46, 16, v23
	v_mul_f16_e32 v45, 0xb94e, v22
	v_add_f16_e32 v30, v30, v24
	v_fma_f16 v24, v46, s16, -v45
	v_add_f16_e32 v31, v24, v25
	s_mov_b32 s17, 0xb3a8
	v_pk_add_f16 v24, v8, v9 neg_lo:[0,1] neg_hi:[0,1]
	s_mov_b32 s18, 0xbbc4
	v_pk_add_f16 v25, v9, v8
	v_mul_f16_sdwa v38, v24, s17 dst_sel:DWORD dst_unused:UNUSED_PAD src0_sel:WORD_1 src1_sel:DWORD
	v_fma_f16 v32, v25, s18, v38
	v_lshrrev_b32_e32 v48, 16, v25
	v_mul_f16_e32 v47, 0xb3a8, v24
	v_add_f16_e32 v32, v32, v30
	v_fma_f16 v30, v48, s18, -v47
	v_add_f16_e32 v31, v30, v31
	v_mul_lo_u16_e32 v30, 13, v26
	s_waitcnt lgkmcnt(0)
	; wave barrier
	s_and_saveexec_b64 s[4:5], vcc
	s_cbranch_execz .LBB0_7
; %bb.6:
	v_mul_f16_sdwa v49, v14, s22 dst_sel:DWORD dst_unused:UNUSED_PAD src0_sel:WORD_1 src1_sel:DWORD
	v_fma_f16 v50, v16, s9, v49
	v_mul_f16_sdwa v51, v15, s11 dst_sel:DWORD dst_unused:UNUSED_PAD src0_sel:WORD_1 src1_sel:DWORD
	v_add_f16_e32 v50, v50, v0
	v_fma_f16 v52, v18, s14, v51
	v_add_f16_e32 v50, v52, v50
	v_mul_f16_sdwa v52, v17, s17 dst_sel:DWORD dst_unused:UNUSED_PAD src0_sel:WORD_1 src1_sel:DWORD
	v_fma_f16 v53, v20, s18, v52
	s_movk_i32 s25, 0x394e
	v_add_f16_e32 v50, v53, v50
	v_mul_f16_sdwa v53, v19, s25 dst_sel:DWORD dst_unused:UNUSED_PAD src0_sel:WORD_1 src1_sel:DWORD
	v_fma_f16 v54, v21, s16, v53
	s_movk_i32 s19, 0x3bf1
	;; [unrolled: 4-line block ×3, first 2 shown]
	v_add_f16_e32 v50, v55, v50
	v_mul_f16_sdwa v55, v24, s20 dst_sel:DWORD dst_unused:UNUSED_PAD src0_sel:WORD_1 src1_sel:DWORD
	v_fma_f16 v56, v25, s8, v55
	v_add_f16_e32 v50, v56, v50
	v_mul_f16_e32 v56, 0x2fb7, v37
	v_fma_f16 v57, v14, s19, v56
	v_mul_f16_e32 v58, 0xbbc4, v40
	s_movk_i32 s26, 0x33a8
	v_add_f16_sdwa v57, v57, v0 dst_sel:DWORD dst_unused:UNUSED_PAD src0_sel:DWORD src1_sel:WORD_1
	v_fma_f16 v59, v15, s26, v58
	v_add_f16_e32 v57, v59, v57
	v_mul_f16_e32 v59, 0xb5ac, v42
	v_fma_f16 v60, v17, s11, v59
	v_add_f16_e32 v57, v60, v57
	v_mul_f16_e32 v60, 0x3b15, v44
	;; [unrolled: 3-line block ×3, first 2 shown]
	s_movk_i32 s21, 0x3a95
	v_fma_f16 v62, v22, s21, v61
	v_add_f16_e32 v57, v62, v57
	v_mul_f16_e32 v62, 0xb9fd, v48
	v_fma_f16 v63, v24, s25, v62
	v_add_f16_e32 v57, v63, v57
	s_movk_i32 s27, 0x3b7b
	v_mul_f16_e32 v63, 0xb5ac, v37
	v_fma_f16 v64, v14, s27, v63
	v_mul_f16_e32 v65, 0xb9fd, v40
	v_add_f16_sdwa v64, v64, v0 dst_sel:DWORD dst_unused:UNUSED_PAD src0_sel:DWORD src1_sel:WORD_1
	v_fma_f16 v66, v15, s15, v65
	v_add_f16_e32 v64, v66, v64
	v_mul_f16_e32 v66, 0x3b15, v42
	v_fma_f16 v67, v17, s24, v66
	v_add_f16_e32 v64, v67, v64
	v_mul_f16_e32 v67, 0x2fb7, v44
	v_fma_f16 v68, v19, s19, v67
	v_add_f16_e32 v64, v68, v64
	v_mul_f16_sdwa v68, v14, s11 dst_sel:DWORD dst_unused:UNUSED_PAD src0_sel:WORD_1 src1_sel:DWORD
	v_fma_f16 v69, v16, s14, v68
	v_mul_f16_sdwa v70, v15, s25 dst_sel:DWORD dst_unused:UNUSED_PAD src0_sel:WORD_1 src1_sel:DWORD
	v_add_f16_e32 v69, v69, v0
	v_fma_f16 v71, v18, s16, v70
	v_add_f16_e32 v69, v71, v69
	v_mul_f16_sdwa v71, v17, s20 dst_sel:DWORD dst_unused:UNUSED_PAD src0_sel:WORD_1 src1_sel:DWORD
	v_fma_f16 v72, v20, s8, v71
	v_add_f16_e32 v69, v72, v69
	v_mul_f16_sdwa v72, v19, s23 dst_sel:DWORD dst_unused:UNUSED_PAD src0_sel:WORD_1 src1_sel:DWORD
	;; [unrolled: 3-line block ×4, first 2 shown]
	v_fma_f16 v75, v25, s9, v74
	v_add_f16_e32 v69, v75, v69
	v_mul_f16_e32 v75, 0xb9fd, v37
	v_fma_f16 v76, v14, s25, v75
	v_mul_f16_e32 v77, 0x2fb7, v40
	v_add_f16_sdwa v76, v76, v0 dst_sel:DWORD dst_unused:UNUSED_PAD src0_sel:DWORD src1_sel:WORD_1
	v_fma_f16 v78, v15, s23, v77
	v_add_f16_e32 v76, v78, v76
	v_mul_f16_e32 v78, 0x388b, v42
	v_fma_f16 v79, v17, s21, v78
	v_fma_f16 v63, v14, s11, v63
	v_add_f16_e32 v76, v79, v76
	v_mul_f16_e32 v79, 0xbbc4, v44
	v_add_f16_sdwa v63, v63, v0 dst_sel:DWORD dst_unused:UNUSED_PAD src0_sel:DWORD src1_sel:WORD_1
	v_fma_f16 v65, v15, s25, v65
	v_fma_f16 v80, v19, s17, v79
	;; [unrolled: 1-line block ×3, first 2 shown]
	v_add_f16_e32 v63, v65, v63
	v_fma_f16 v65, v17, s20, v66
	v_mul_f16_e32 v37, 0x3b15, v37
	v_add_f16_e32 v76, v80, v76
	v_mul_f16_e32 v80, 0x3b15, v46
	v_add_f16_sdwa v75, v75, v0 dst_sel:DWORD dst_unused:UNUSED_PAD src0_sel:DWORD src1_sel:WORD_1
	v_fma_f16 v77, v15, s19, v77
	v_add_f16_e32 v63, v65, v63
	v_fma_f16 v65, v19, s23, v67
	v_add_f16_e32 v36, v36, v37
	v_alignbit_b32 v37, v0, v0, 16
	v_fma_f16 v81, v22, s24, v80
	v_add_f16_e32 v75, v77, v75
	v_fma_f16 v77, v17, s22, v78
	v_add_f16_e32 v63, v65, v63
	v_mul_f16_e32 v65, 0xbbc4, v46
	v_pk_add_f16 v1, v1, v37 op_sel:[0,1] op_sel_hi:[1,0]
	v_add_f16_e32 v76, v81, v76
	v_mul_f16_e32 v81, 0xb5ac, v48
	v_add_f16_e32 v75, v77, v75
	v_fma_f16 v77, v19, s26, v79
	v_fma_f16 v66, v22, s26, v65
	v_pk_add_f16 v1, v10, v1
	v_fma_f16 v82, v24, s27, v81
	v_add_f16_e32 v75, v77, v75
	v_fma_f16 v77, v22, s20, v80
	v_add_f16_e32 v63, v66, v63
	v_mul_f16_e32 v66, 0x388b, v48
	v_mul_f16_e32 v40, 0x388b, v40
	v_pk_add_f16 v1, v11, v1
	v_add_f16_e32 v76, v82, v76
	v_mul_f16_sdwa v82, v14, s15 dst_sel:DWORD dst_unused:UNUSED_PAD src0_sel:WORD_1 src1_sel:DWORD
	v_add_f16_e32 v75, v77, v75
	v_fma_f16 v77, v24, s11, v81
	v_fma_f16 v67, v24, s21, v66
	v_add_f16_e32 v39, v39, v40
	v_mul_f16_e32 v40, 0x3b15, v16
	v_add_f16_sdwa v36, v36, v0 dst_sel:DWORD dst_unused:UNUSED_PAD src0_sel:DWORD src1_sel:WORD_1
	v_pk_add_f16 v1, v6, v1
	v_fma_f16 v83, v16, s16, v82
	v_add_f16_e32 v75, v77, v75
	v_fma_f16 v77, v16, s16, -v82
	v_add_f16_e32 v63, v67, v63
	v_fma_f16 v67, v16, s14, -v68
	v_fma_f16 v56, v14, s23, v56
	v_fma_f16 v49, v16, s9, -v49
	v_add_f16_e32 v36, v39, v36
	v_mul_f16_e32 v39, 0x388b, v18
	v_mul_f16_e32 v42, 0x2fb7, v42
	v_sub_f16_e32 v28, v40, v28
	v_pk_add_f16 v1, v7, v1
	v_add_f16_e32 v83, v83, v0
	v_add_f16_e32 v77, v77, v0
	;; [unrolled: 1-line block ×3, first 2 shown]
	v_add_f16_sdwa v56, v56, v0 dst_sel:DWORD dst_unused:UNUSED_PAD src0_sel:DWORD src1_sel:WORD_1
	v_add_f16_e32 v49, v49, v0
	v_add_f16_e32 v41, v41, v42
	v_mul_f16_e32 v42, 0x2fb7, v20
	v_sub_f16_e32 v29, v39, v29
	v_add_f16_e32 v0, v28, v0
	v_pk_add_f16 v1, v8, v1
	v_fma_f16 v58, v15, s17, v58
	v_add_f16_e32 v36, v41, v36
	v_mul_f16_e32 v41, 0xb5ac, v21
	v_mul_f16_e32 v44, 0xb5ac, v44
	v_add_f16_e32 v0, v29, v0
	v_sub_f16_e32 v29, v42, v33
	v_pk_add_f16 v1, v9, v1
	v_mul_f16_sdwa v84, v15, s19 dst_sel:DWORD dst_unused:UNUSED_PAD src0_sel:WORD_1 src1_sel:DWORD
	v_add_f16_e32 v56, v58, v56
	v_fma_f16 v58, v17, s27, v59
	v_add_f16_e32 v43, v43, v44
	v_mul_f16_e32 v44, 0xb9fd, v23
	v_mul_f16_e32 v46, 0xb9fd, v46
	v_add_f16_e32 v0, v29, v0
	v_sub_f16_e32 v34, v41, v34
	v_pk_add_f16 v1, v2, v1
	v_fma_f16 v85, v18, s10, v84
	v_add_f16_e32 v56, v58, v56
	v_fma_f16 v58, v19, s20, v60
	v_add_f16_e32 v36, v43, v36
	v_mul_f16_e32 v43, 0xbbc4, v25
	v_mul_f16_e32 v48, 0xbbc4, v48
	v_add_f16_e32 v45, v45, v46
	v_add_f16_e32 v0, v34, v0
	v_sub_f16_e32 v35, v44, v35
	v_pk_add_f16 v1, v3, v1
	v_add_f16_e32 v83, v85, v83
	v_mul_f16_sdwa v85, v17, s22 dst_sel:DWORD dst_unused:UNUSED_PAD src0_sel:WORD_1 src1_sel:DWORD
	v_add_f16_e32 v56, v58, v56
	v_fma_f16 v58, v22, s22, v61
	s_mov_b32 s22, 0x388b2fb7
	v_add_f16_e32 v36, v45, v36
	v_add_f16_e32 v47, v47, v48
	;; [unrolled: 1-line block ×3, first 2 shown]
	v_sub_f16_e32 v38, v43, v38
	v_pk_add_f16 v1, v4, v1
	v_pk_mul_f16 v46, v16, s22
	s_mov_b32 s22, 0xbbf1ba95
	s_mov_b32 s23, 0xb5acbbc4
	v_add_f16_e32 v36, v47, v36
	v_add_f16_e32 v0, v38, v0
	v_pk_add_f16 v1, v5, v1
	v_pk_fma_f16 v45, v14, s22, v46 op_sel:[0,0,1] op_sel_hi:[1,1,0] neg_lo:[1,0,0] neg_hi:[1,0,0]
	v_pk_mul_f16 v48, v18, s23
	s_mov_b32 s23, 0xb3a8bb7b
	s_mov_b32 s24, 0xbbc4b5ac
	v_pk_fma_f16 v44, v14, s22, v46 op_sel:[0,0,1] op_sel_hi:[1,1,0]
	v_lshlrev_b32_e32 v10, 2, v30
	v_pk_add_f16 v1, v12, v1
	v_pack_b32_f16 v0, v0, v36
	s_mov_b32 s22, 0xffff
	v_fma_f16 v86, v20, s9, v85
	v_pk_fma_f16 v47, v15, s23, v48 op_sel:[0,0,1] op_sel_hi:[1,1,0] neg_lo:[1,0,0] neg_hi:[1,0,0]
	v_pk_mul_f16 v40, v20, s24
	s_mov_b32 s24, 0x3b7bb3a8
	s_mov_b32 s25, 0xb9fd3b15
	v_pk_fma_f16 v46, v15, s23, v48 op_sel:[0,0,1] op_sel_hi:[1,1,0]
	ds_write2_b32 v10, v1, v0 offset1:1
	v_bfi_b32 v0, s22, v44, v45
	v_add_f16_e32 v83, v86, v83
	v_mul_f16_sdwa v86, v19, s26 dst_sel:DWORD dst_unused:UNUSED_PAD src0_sel:WORD_1 src1_sel:DWORD
	v_pk_fma_f16 v39, v17, s24, v40 op_sel:[0,0,1] op_sel_hi:[1,1,0] neg_lo:[1,0,0] neg_hi:[1,0,0]
	v_pk_mul_f16 v28, v21, s25
	s_mov_b32 s25, 0x3770394e
	s_mov_b32 s26, 0x2fb7388b
	v_pk_fma_f16 v40, v17, s24, v40 op_sel:[0,0,1] op_sel_hi:[1,1,0]
	v_pk_add_f16 v0, v0, v37
	v_bfi_b32 v1, s22, v46, v47
	v_fma_f16 v51, v18, s14, -v51
	v_pk_fma_f16 v33, v19, s25, v28 op_sel:[0,0,1] op_sel_hi:[1,1,0] neg_lo:[1,0,0] neg_hi:[1,0,0]
	v_pk_mul_f16 v29, v23, s26
	s_mov_b32 s26, 0xba953bf1
	v_pk_fma_f16 v28, v19, s25, v28 op_sel:[0,0,1] op_sel_hi:[1,1,0]
	v_pk_add_f16 v0, v1, v0
	v_bfi_b32 v1, s22, v40, v39
	v_fma_f16 v87, v21, s18, v86
	v_fma_f16 v78, v18, s10, -v84
	v_fma_f16 v68, v18, s16, -v70
	v_add_f16_e32 v49, v51, v49
	v_fma_f16 v51, v20, s18, -v52
	v_pk_fma_f16 v41, v22, s26, v29 op_sel:[0,0,1] op_sel_hi:[1,1,0] neg_lo:[1,0,0] neg_hi:[1,0,0]
	s_mov_b32 s27, 0x3b15b9fd
	v_pk_fma_f16 v29, v22, s26, v29 op_sel:[0,0,1] op_sel_hi:[1,1,0]
	v_pk_add_f16 v0, v1, v0
	v_bfi_b32 v1, s22, v28, v33
	v_add_f16_e32 v83, v87, v83
	v_mul_f16_sdwa v87, v22, s20 dst_sel:DWORD dst_unused:UNUSED_PAD src0_sel:WORD_1 src1_sel:DWORD
	v_add_f16_e32 v77, v78, v77
	v_fma_f16 v78, v20, s9, -v85
	v_add_f16_e32 v67, v68, v67
	v_fma_f16 v68, v20, s8, -v71
	;; [unrolled: 2-line block ×3, first 2 shown]
	v_pk_mul_f16 v34, v25, s27
	s_mov_b32 s27, 0xb94e3770
	v_pk_add_f16 v0, v1, v0
	v_bfi_b32 v1, s22, v29, v41
	v_fma_f16 v88, v23, s8, v87
	v_add_f16_e32 v77, v78, v77
	v_fma_f16 v78, v21, s18, -v86
	v_add_f16_e32 v67, v68, v67
	v_fma_f16 v68, v21, s10, -v72
	;; [unrolled: 2-line block ×3, first 2 shown]
	v_pk_fma_f16 v35, v24, s27, v34 op_sel:[0,0,1] op_sel_hi:[1,1,0] neg_lo:[1,0,0] neg_hi:[1,0,0]
	v_pk_add_f16 v0, v1, v0
	v_pk_fma_f16 v1, v24, s27, v34 op_sel:[0,0,1] op_sel_hi:[1,1,0]
	v_add_f16_e32 v83, v88, v83
	v_mul_f16_sdwa v88, v24, s11 dst_sel:DWORD dst_unused:UNUSED_PAD src0_sel:WORD_1 src1_sel:DWORD
	v_add_f16_e32 v77, v78, v77
	v_fma_f16 v78, v23, s8, -v87
	v_add_f16_e32 v67, v68, v67
	v_fma_f16 v68, v23, s18, -v73
	v_add_f16_e32 v56, v58, v56
	v_fma_f16 v58, v24, s15, v62
	v_add_f16_e32 v49, v51, v49
	v_fma_f16 v51, v25, s8, -v55
	v_bfi_b32 v1, s22, v1, v35
	v_add_f16_e32 v77, v78, v77
	v_fma_f16 v78, v25, s14, -v88
	v_add_f16_e32 v67, v68, v67
	v_fma_f16 v68, v25, s9, -v74
	v_add_f16_e32 v56, v58, v56
	v_add_f16_e32 v49, v51, v49
	v_pk_add_f16 v0, v1, v0
	v_add_f16_e32 v77, v78, v77
	v_add_f16_e32 v67, v68, v67
	v_alignbit_b32 v1, v56, v0, 16
	v_pack_b32_f16 v0, v49, v0
	ds_write2_b32 v10, v0, v1 offset0:2 offset1:3
	v_pack_b32_f16 v0, v77, v75
	v_pack_b32_f16 v1, v67, v63
	ds_write2_b32 v10, v1, v0 offset0:4 offset1:5
	v_pk_mul_f16 v0, v16, s18 op_sel_hi:[1,0]
	v_pk_fma_f16 v1, v14, s17, v0 op_sel:[0,0,1] op_sel_hi:[1,0,0] neg_lo:[1,0,0] neg_hi:[1,0,0]
	v_pk_mul_f16 v2, v18, s8 op_sel_hi:[1,0]
	v_pk_add_f16 v1, v1, v37
	v_pk_fma_f16 v3, v15, s20, v2 op_sel:[0,0,1] op_sel_hi:[1,0,0] neg_lo:[1,0,0] neg_hi:[1,0,0]
	v_pk_add_f16 v1, v3, v1
	v_pk_mul_f16 v3, v20, s16 op_sel_hi:[1,0]
	v_pk_fma_f16 v4, v17, s15, v3 op_sel:[0,0,1] op_sel_hi:[1,0,0] neg_lo:[1,0,0] neg_hi:[1,0,0]
	v_pk_add_f16 v1, v4, v1
	v_pk_mul_f16 v4, v21, s9 op_sel_hi:[1,0]
	v_pk_fma_f16 v0, v14, s17, v0 op_sel:[0,0,1] op_sel_hi:[1,0,0]
	v_pk_fma_f16 v5, v19, s21, v4 op_sel:[0,0,1] op_sel_hi:[1,0,0] neg_lo:[1,0,0] neg_hi:[1,0,0]
	v_pk_add_f16 v0, v0, v37
	v_pk_fma_f16 v2, v15, s20, v2 op_sel:[0,0,1] op_sel_hi:[1,0,0]
	v_pk_add_f16 v1, v5, v1
	v_pk_mul_f16 v5, v23, s14 op_sel_hi:[1,0]
	v_pk_add_f16 v0, v2, v0
	v_pk_fma_f16 v2, v17, s15, v3 op_sel:[0,0,1] op_sel_hi:[1,0,0]
	v_pk_fma_f16 v6, v22, s11, v5 op_sel:[0,0,1] op_sel_hi:[1,0,0] neg_lo:[1,0,0] neg_hi:[1,0,0]
	v_pk_add_f16 v0, v2, v0
	v_pk_fma_f16 v2, v19, s21, v4 op_sel:[0,0,1] op_sel_hi:[1,0,0]
	v_pk_add_f16 v1, v6, v1
	v_pk_mul_f16 v6, v25, s10 op_sel_hi:[1,0]
	v_pk_add_f16 v0, v2, v0
	v_pk_fma_f16 v2, v22, s11, v5 op_sel:[0,0,1] op_sel_hi:[1,0,0]
	v_pk_fma_f16 v7, v24, s19, v6 op_sel:[0,0,1] op_sel_hi:[1,0,0] neg_lo:[1,0,0] neg_hi:[1,0,0]
	v_pk_add_f16 v0, v2, v0
	v_pk_fma_f16 v2, v24, s19, v6 op_sel:[0,0,1] op_sel_hi:[1,0,0]
	v_fma_f16 v89, v25, s14, v88
	v_pk_add_f16 v38, v44, v37
	v_pk_add_f16 v1, v7, v1
	;; [unrolled: 1-line block ×3, first 2 shown]
	v_add_f16_e32 v83, v89, v83
	v_pk_add_f16 v38, v46, v38
	v_alignbit_b32 v2, v1, v0, 16
	v_alignbit_b32 v0, v0, v1, 16
	v_pk_mul_f16 v42, v24, s27
	v_pk_add_f16 v38, v40, v38
	v_fma_f16 v48, v22, s17, v65
	ds_write2_b32 v10, v0, v2 offset0:6 offset1:7
	v_pack_b32_f16 v0, v83, v76
	v_add_f16_e32 v43, v45, v37
	v_pk_add_f16 v38, v28, v38
	v_mul_f16_e32 v51, 0x3a95, v24
	ds_write_b32 v10, v0 offset:32
	v_pack_b32_f16 v0, v48, v34
	v_bfi_b32 v1, s22, v64, v42
	v_add_f16_e32 v43, v47, v43
	v_pk_add_f16 v0, v0, v1
	v_bfi_b32 v1, s22, v51, v38
	v_add_f16_e32 v43, v39, v43
	v_pk_add_f16 v1, v66, v1 neg_lo:[0,1] neg_hi:[0,1]
	v_pk_add_f16 v2, v29, v38
	v_add_f16_e32 v43, v33, v43
	v_bfi_b32 v1, s22, v1, v2
	v_add_f16_e32 v43, v41, v43
	v_pk_add_f16 v0, v1, v0
	v_add_f16_e32 v43, v35, v43
	v_alignbit_b32 v1, v57, v0, 16
	v_pack_b32_f16 v0, v69, v0
	s_mov_b32 s8, 0x5040100
	ds_write2_b32 v10, v0, v1 offset0:9 offset1:10
	v_pack_b32_f16 v0, v50, v43
	v_perm_b32 v1, v31, v32, s8
	ds_write2_b32 v10, v0, v1 offset0:11 offset1:12
.LBB0_7:
	s_or_b64 exec, exec, s[4:5]
	s_movk_i32 s4, 0x4f
	v_mul_lo_u16_sdwa v0, v26, s4 dst_sel:DWORD dst_unused:UNUSED_PAD src0_sel:BYTE_0 src1_sel:DWORD
	v_add_u16_e32 v2, 52, v26
	v_lshrrev_b16_e32 v22, 10, v0
	v_mul_lo_u16_sdwa v3, v2, s4 dst_sel:DWORD dst_unused:UNUSED_PAD src0_sel:BYTE_0 src1_sel:DWORD
	v_mul_lo_u16_e32 v0, 13, v22
	v_lshrrev_b16_e32 v24, 10, v3
	v_sub_u16_e32 v0, v26, v0
	v_mul_lo_u16_e32 v3, 13, v24
	v_and_b32_e32 v23, 0xff, v0
	v_sub_u16_e32 v2, v2, v3
	s_load_dwordx4 s[8:11], s[2:3], 0x0
	v_mad_u64_u32 v[0:1], s[2:3], v23, 12, s[0:1]
	v_and_b32_e32 v25, 0xff, v2
	v_mad_u64_u32 v[2:3], s[2:3], v25, 12, s[0:1]
	s_waitcnt lgkmcnt(0)
	; wave barrier
	s_waitcnt lgkmcnt(0)
	global_load_dwordx3 v[10:12], v[0:1], off
	global_load_dwordx3 v[4:6], v[2:3], off
	v_add_u16_e32 v0, 0x68, v26
	v_mul_lo_u16_sdwa v1, v0, s4 dst_sel:DWORD dst_unused:UNUSED_PAD src0_sel:BYTE_0 src1_sel:DWORD
	v_lshrrev_b16_e32 v28, 10, v1
	v_mul_lo_u16_e32 v1, 13, v28
	v_sub_u16_e32 v0, v0, v1
	v_and_b32_e32 v33, 0xff, v0
	v_mad_u64_u32 v[0:1], s[2:3], v33, 12, s[0:1]
	v_mul_u32_u24_e32 v22, 52, v22
	global_load_dwordx3 v[7:9], v[0:1], off
	v_mov_b32_e32 v0, 2
	v_lshlrev_b32_sdwa v29, v0, v26 dst_sel:DWORD dst_unused:UNUSED_PAD src0_sel:DWORD src1_sel:WORD_0
	ds_read2_b32 v[0:1], v29 offset1:52
	ds_read2_b32 v[2:3], v29 offset0:104 offset1:156
	v_add_u32_e32 v55, 0x400, v29
	v_add_u32_e32 v56, 0x200, v29
	;; [unrolled: 1-line block ×3, first 2 shown]
	ds_read2_b32 v[14:15], v55 offset0:56 offset1:108
	ds_read2_b32 v[16:17], v55 offset0:160 offset1:212
	;; [unrolled: 1-line block ×4, first 2 shown]
	s_waitcnt lgkmcnt(4)
	v_lshrrev_b32_e32 v35, 16, v3
	s_waitcnt lgkmcnt(3)
	v_lshrrev_b32_e32 v38, 16, v14
	;; [unrolled: 2-line block ×3, first 2 shown]
	v_lshrrev_b32_e32 v34, 16, v0
	s_waitcnt lgkmcnt(1)
	v_lshrrev_b32_e32 v40, 16, v18
	s_waitcnt lgkmcnt(0)
	v_lshrrev_b32_e32 v42, 16, v20
	v_lshrrev_b32_e32 v41, 16, v15
	;; [unrolled: 1-line block ×7, first 2 shown]
	s_waitcnt lgkmcnt(0)
	; wave barrier
	s_waitcnt vmcnt(2)
	v_mul_f16_sdwa v47, v3, v10 dst_sel:DWORD dst_unused:UNUSED_PAD src0_sel:DWORD src1_sel:WORD_1
	v_mul_f16_sdwa v49, v14, v11 dst_sel:DWORD dst_unused:UNUSED_PAD src0_sel:DWORD src1_sel:WORD_1
	v_mul_f16_sdwa v51, v17, v12 dst_sel:DWORD dst_unused:UNUSED_PAD src0_sel:DWORD src1_sel:WORD_1
	v_mul_f16_sdwa v46, v35, v10 dst_sel:DWORD dst_unused:UNUSED_PAD src0_sel:DWORD src1_sel:WORD_1
	v_mul_f16_sdwa v48, v38, v11 dst_sel:DWORD dst_unused:UNUSED_PAD src0_sel:DWORD src1_sel:WORD_1
	v_mul_f16_sdwa v50, v39, v12 dst_sel:DWORD dst_unused:UNUSED_PAD src0_sel:DWORD src1_sel:WORD_1
	v_fma_f16 v35, v35, v10, v47
	v_fma_f16 v38, v38, v11, v49
	;; [unrolled: 1-line block ×3, first 2 shown]
	v_sub_f16_e32 v38, v34, v38
	v_sub_f16_e32 v39, v35, v39
	s_waitcnt vmcnt(1)
	v_mul_f16_sdwa v52, v40, v4 dst_sel:DWORD dst_unused:UNUSED_PAD src0_sel:DWORD src1_sel:WORD_1
	v_mul_f16_sdwa v58, v15, v5 dst_sel:DWORD dst_unused:UNUSED_PAD src0_sel:DWORD src1_sel:WORD_1
	;; [unrolled: 1-line block ×3, first 2 shown]
	v_fma_f16 v34, v34, 2.0, -v38
	v_fma_f16 v35, v35, 2.0, -v39
	v_mul_f16_sdwa v53, v18, v4 dst_sel:DWORD dst_unused:UNUSED_PAD src0_sel:DWORD src1_sel:WORD_1
	v_mul_f16_sdwa v54, v41, v5 dst_sel:DWORD dst_unused:UNUSED_PAD src0_sel:DWORD src1_sel:WORD_1
	;; [unrolled: 1-line block ×3, first 2 shown]
	v_fma_f16 v3, v3, v10, -v46
	v_fma_f16 v14, v14, v11, -v48
	;; [unrolled: 1-line block ×4, first 2 shown]
	v_fma_f16 v41, v41, v5, v58
	v_fma_f16 v20, v20, v6, -v59
	v_sub_f16_e32 v35, v34, v35
	s_waitcnt vmcnt(0)
	v_mul_f16_sdwa v61, v43, v7 dst_sel:DWORD dst_unused:UNUSED_PAD src0_sel:DWORD src1_sel:WORD_1
	v_mul_f16_sdwa v64, v16, v8 dst_sel:DWORD dst_unused:UNUSED_PAD src0_sel:DWORD src1_sel:WORD_1
	;; [unrolled: 1-line block ×3, first 2 shown]
	v_sub_f16_e32 v14, v0, v14
	v_sub_f16_e32 v17, v3, v17
	v_fma_f16 v46, v34, 2.0, -v35
	v_sub_f16_e32 v34, v36, v41
	v_sub_f16_e32 v20, v18, v20
	v_mul_f16_sdwa v62, v19, v7 dst_sel:DWORD dst_unused:UNUSED_PAD src0_sel:DWORD src1_sel:WORD_1
	v_mul_f16_sdwa v63, v44, v8 dst_sel:DWORD dst_unused:UNUSED_PAD src0_sel:DWORD src1_sel:WORD_1
	;; [unrolled: 1-line block ×3, first 2 shown]
	v_fma_f16 v40, v40, v4, v53
	v_fma_f16 v42, v42, v6, v60
	v_fma_f16 v19, v19, v7, -v61
	v_fma_f16 v44, v44, v8, v64
	v_fma_f16 v21, v21, v9, -v65
	v_fma_f16 v0, v0, 2.0, -v14
	v_fma_f16 v3, v3, 2.0, -v17
	;; [unrolled: 1-line block ×3, first 2 shown]
	v_add_f16_e32 v20, v34, v20
	v_fma_f16 v15, v15, v5, -v54
	v_sub_f16_e32 v3, v0, v3
	v_sub_f16_e32 v39, v14, v39
	v_add_f16_e32 v17, v38, v17
	v_fma_f16 v36, v36, 2.0, -v34
	v_sub_f16_e32 v41, v40, v42
	v_fma_f16 v42, v34, 2.0, -v20
	v_sub_f16_e32 v34, v37, v44
	v_sub_f16_e32 v21, v19, v21
	v_fma_f16 v43, v43, v7, v62
	v_fma_f16 v45, v45, v9, v66
	v_fma_f16 v0, v0, 2.0, -v3
	v_fma_f16 v14, v14, 2.0, -v39
	;; [unrolled: 1-line block ×3, first 2 shown]
	v_sub_f16_e32 v15, v1, v15
	v_fma_f16 v19, v19, 2.0, -v21
	v_add_f16_e32 v21, v34, v21
	v_fma_f16 v1, v1, 2.0, -v15
	v_fma_f16 v40, v40, 2.0, -v41
	v_fma_f16 v37, v37, 2.0, -v34
	v_sub_f16_e32 v44, v43, v45
	v_fma_f16 v45, v34, 2.0, -v21
	v_add_lshl_u32 v34, v22, v23, 2
	v_pack_b32_f16 v0, v0, v46
	v_pack_b32_f16 v14, v14, v38
	v_fma_f16 v16, v16, v8, -v63
	v_sub_f16_e32 v18, v1, v18
	v_sub_f16_e32 v40, v36, v40
	;; [unrolled: 1-line block ×3, first 2 shown]
	ds_write2_b32 v34, v0, v14 offset1:13
	v_pack_b32_f16 v0, v3, v35
	v_pack_b32_f16 v3, v39, v17
	v_fma_f16 v1, v1, 2.0, -v18
	v_fma_f16 v36, v36, 2.0, -v40
	;; [unrolled: 1-line block ×3, first 2 shown]
	v_sub_f16_e32 v16, v2, v16
	ds_write2_b32 v34, v0, v3 offset0:26 offset1:39
	v_mul_u32_u24_e32 v0, 52, v24
	v_fma_f16 v2, v2, 2.0, -v16
	v_fma_f16 v43, v43, 2.0, -v44
	v_add_lshl_u32 v35, v0, v25, 2
	v_pack_b32_f16 v0, v1, v36
	v_pack_b32_f16 v1, v15, v42
	v_sub_f16_e32 v19, v2, v19
	v_sub_f16_e32 v43, v37, v43
	;; [unrolled: 1-line block ×3, first 2 shown]
	ds_write2_b32 v35, v0, v1 offset1:13
	v_pack_b32_f16 v0, v18, v40
	v_pack_b32_f16 v1, v41, v20
	v_mad_u64_u32 v[14:15], s[0:1], v26, 20, s[0:1]
	v_fma_f16 v2, v2, 2.0, -v19
	v_fma_f16 v37, v37, 2.0, -v43
	;; [unrolled: 1-line block ×3, first 2 shown]
	ds_write2_b32 v35, v0, v1 offset0:26 offset1:39
	v_mul_u32_u24_e32 v0, 52, v28
	v_add_lshl_u32 v36, v0, v33, 2
	v_pack_b32_f16 v0, v2, v37
	v_pack_b32_f16 v1, v16, v45
	ds_write2_b32 v36, v0, v1 offset1:13
	v_pack_b32_f16 v0, v19, v43
	v_pack_b32_f16 v1, v44, v21
	ds_write2_b32 v36, v0, v1 offset0:26 offset1:39
	s_waitcnt lgkmcnt(0)
	; wave barrier
	s_waitcnt lgkmcnt(0)
	global_load_dwordx4 v[0:3], v[14:15], off offset:156
	global_load_dword v33, v[14:15], off offset:172
	ds_read2_b32 v[16:17], v29 offset1:52
	ds_read2_b32 v[18:19], v29 offset0:104 offset1:156
	ds_read2_b32 v[20:21], v56 offset0:80 offset1:132
	;; [unrolled: 1-line block ×5, first 2 shown]
	s_waitcnt lgkmcnt(4)
	v_lshrrev_b32_e32 v39, 16, v18
	s_waitcnt lgkmcnt(3)
	v_lshrrev_b32_e32 v40, 16, v20
	;; [unrolled: 2-line block ×5, first 2 shown]
	v_lshrrev_b32_e32 v45, 16, v19
	v_lshrrev_b32_e32 v46, 16, v21
	;; [unrolled: 1-line block ×6, first 2 shown]
	s_movk_i32 s0, 0x3aee
	s_mov_b32 s1, 0xbaee
	v_lshrrev_b32_e32 v44, 16, v17
	s_waitcnt lgkmcnt(0)
	; wave barrier
	s_waitcnt vmcnt(1)
	v_mul_f16_sdwa v50, v39, v0 dst_sel:DWORD dst_unused:UNUSED_PAD src0_sel:DWORD src1_sel:WORD_1
	v_fma_f16 v50, v18, v0, -v50
	v_mul_f16_sdwa v18, v18, v0 dst_sel:DWORD dst_unused:UNUSED_PAD src0_sel:DWORD src1_sel:WORD_1
	v_fma_f16 v18, v39, v0, v18
	v_mul_f16_sdwa v39, v40, v1 dst_sel:DWORD dst_unused:UNUSED_PAD src0_sel:DWORD src1_sel:WORD_1
	v_fma_f16 v39, v20, v1, -v39
	v_mul_f16_sdwa v20, v20, v1 dst_sel:DWORD dst_unused:UNUSED_PAD src0_sel:DWORD src1_sel:WORD_1
	v_fma_f16 v20, v40, v1, v20
	;; [unrolled: 4-line block ×4, first 2 shown]
	s_waitcnt vmcnt(0)
	v_mul_f16_sdwa v42, v43, v33 dst_sel:DWORD dst_unused:UNUSED_PAD src0_sel:DWORD src1_sel:WORD_1
	v_fma_f16 v42, v37, v33, -v42
	v_mul_f16_sdwa v37, v37, v33 dst_sel:DWORD dst_unused:UNUSED_PAD src0_sel:DWORD src1_sel:WORD_1
	v_fma_f16 v37, v43, v33, v37
	v_mul_f16_sdwa v43, v45, v0 dst_sel:DWORD dst_unused:UNUSED_PAD src0_sel:DWORD src1_sel:WORD_1
	v_fma_f16 v43, v19, v0, -v43
	v_mul_f16_sdwa v19, v19, v0 dst_sel:DWORD dst_unused:UNUSED_PAD src0_sel:DWORD src1_sel:WORD_1
	v_fma_f16 v19, v45, v0, v19
	v_mul_f16_sdwa v45, v46, v1 dst_sel:DWORD dst_unused:UNUSED_PAD src0_sel:DWORD src1_sel:WORD_1
	v_fma_f16 v45, v21, v1, -v45
	v_mul_f16_sdwa v21, v21, v1 dst_sel:DWORD dst_unused:UNUSED_PAD src0_sel:DWORD src1_sel:WORD_1
	v_fma_f16 v21, v46, v1, v21
	v_mul_f16_sdwa v46, v47, v2 dst_sel:DWORD dst_unused:UNUSED_PAD src0_sel:DWORD src1_sel:WORD_1
	v_fma_f16 v46, v23, v2, -v46
	v_mul_f16_sdwa v23, v23, v2 dst_sel:DWORD dst_unused:UNUSED_PAD src0_sel:DWORD src1_sel:WORD_1
	v_fma_f16 v23, v47, v2, v23
	v_mul_f16_sdwa v47, v48, v3 dst_sel:DWORD dst_unused:UNUSED_PAD src0_sel:DWORD src1_sel:WORD_1
	v_fma_f16 v47, v25, v3, -v47
	v_mul_f16_sdwa v25, v25, v3 dst_sel:DWORD dst_unused:UNUSED_PAD src0_sel:DWORD src1_sel:WORD_1
	v_fma_f16 v25, v48, v3, v25
	v_mul_f16_sdwa v48, v49, v33 dst_sel:DWORD dst_unused:UNUSED_PAD src0_sel:DWORD src1_sel:WORD_1
	v_fma_f16 v48, v38, v33, -v48
	v_mul_f16_sdwa v38, v38, v33 dst_sel:DWORD dst_unused:UNUSED_PAD src0_sel:DWORD src1_sel:WORD_1
	v_add_f16_e32 v51, v39, v41
	v_fma_f16 v38, v49, v33, v38
	v_add_f16_e32 v49, v16, v39
	v_fma_f16 v16, v51, -0.5, v16
	v_sub_f16_e32 v51, v20, v24
	v_fma_f16 v52, v51, s0, v16
	v_fma_f16 v16, v51, s1, v16
	v_add_f16_e32 v51, v28, v20
	v_add_f16_e32 v51, v51, v24
	;; [unrolled: 1-line block ×3, first 2 shown]
	v_sub_f16_e32 v24, v39, v41
	v_add_f16_e32 v39, v40, v42
	v_add_f16_e32 v49, v49, v41
	v_fma_f16 v20, v20, -0.5, v28
	v_fma_f16 v39, v39, -0.5, v50
	v_sub_f16_e32 v41, v22, v37
	v_fma_f16 v28, v24, s1, v20
	v_fma_f16 v20, v24, s0, v20
	v_add_f16_e32 v24, v50, v40
	v_fma_f16 v50, v41, s0, v39
	v_fma_f16 v39, v41, s1, v39
	v_add_f16_e32 v41, v18, v22
	v_add_f16_e32 v22, v22, v37
	v_fma_f16 v18, v22, -0.5, v18
	v_sub_f16_e32 v22, v40, v42
	v_add_f16_e32 v41, v41, v37
	v_fma_f16 v37, v22, s1, v18
	v_mul_f16_e32 v40, 0x3aee, v37
	v_fma_f16 v18, v22, s0, v18
	v_fma_f16 v40, v50, 0.5, v40
	v_mul_f16_e32 v53, -0.5, v39
	v_mul_f16_e32 v50, 0xbaee, v50
	v_fma_f16 v53, v18, s0, v53
	v_fma_f16 v37, v37, 0.5, v50
	v_mul_f16_e32 v18, -0.5, v18
	v_add_f16_e32 v50, v28, v37
	v_fma_f16 v18, v39, s1, v18
	v_sub_f16_e32 v28, v28, v37
	v_add_f16_e32 v37, v45, v47
	v_add_f16_e32 v24, v24, v42
	;; [unrolled: 1-line block ×3, first 2 shown]
	v_sub_f16_e32 v18, v20, v18
	v_add_f16_e32 v20, v17, v45
	v_fma_f16 v17, v37, -0.5, v17
	v_sub_f16_e32 v37, v21, v25
	v_add_f16_e32 v22, v49, v24
	v_sub_f16_e32 v24, v49, v24
	v_fma_f16 v49, v37, s0, v17
	v_fma_f16 v17, v37, s1, v17
	v_add_f16_e32 v37, v44, v21
	v_add_f16_e32 v21, v21, v25
	v_add_f16_e32 v37, v37, v25
	v_fma_f16 v21, v21, -0.5, v44
	v_sub_f16_e32 v25, v45, v47
	v_add_f16_e32 v45, v46, v48
	v_fma_f16 v44, v25, s1, v21
	v_fma_f16 v21, v25, s0, v21
	v_add_f16_e32 v25, v43, v46
	v_fma_f16 v43, v45, -0.5, v43
	v_sub_f16_e32 v45, v23, v38
	v_add_f16_e32 v20, v20, v47
	v_fma_f16 v47, v45, s0, v43
	v_fma_f16 v43, v45, s1, v43
	v_add_f16_e32 v45, v19, v23
	v_add_f16_e32 v23, v23, v38
	v_fma_f16 v19, v23, -0.5, v19
	v_sub_f16_e32 v23, v46, v48
	v_add_f16_e32 v58, v51, v41
	v_sub_f16_e32 v41, v51, v41
	v_add_f16_e32 v45, v45, v38
	v_fma_f16 v38, v23, s1, v19
	v_fma_f16 v19, v23, s0, v19
	v_mul_f16_e32 v51, -0.5, v43
	v_fma_f16 v51, v19, s0, v51
	v_mul_f16_e32 v19, -0.5, v19
	v_add_f16_e32 v42, v52, v40
	v_mul_f16_e32 v46, 0x3aee, v38
	v_fma_f16 v19, v43, s1, v19
	v_add_f16_e32 v54, v16, v53
	v_fma_f16 v46, v47, 0.5, v46
	v_mul_f16_e32 v47, 0xbaee, v47
	v_add_f16_e32 v43, v21, v19
	v_sub_f16_e32 v19, v21, v19
	v_pack_b32_f16 v21, v22, v58
	v_pack_b32_f16 v22, v42, v50
	v_sub_f16_e32 v40, v52, v40
	v_sub_f16_e32 v16, v16, v53
	v_add_f16_e32 v25, v25, v48
	v_fma_f16 v38, v38, 0.5, v47
	ds_write2_b32 v29, v21, v22 offset1:52
	v_pack_b32_f16 v21, v54, v39
	v_pack_b32_f16 v22, v24, v41
	v_add_f16_e32 v23, v20, v25
	v_add_f16_e32 v48, v49, v46
	;; [unrolled: 1-line block ×4, first 2 shown]
	ds_write2_b32 v29, v21, v22 offset0:104 offset1:156
	v_pack_b32_f16 v21, v40, v28
	v_pack_b32_f16 v16, v16, v18
	v_add_f16_e32 v52, v17, v51
	v_sub_f16_e32 v20, v20, v25
	v_sub_f16_e32 v37, v37, v45
	ds_write2_b32 v56, v21, v16 offset0:80 offset1:132
	v_pack_b32_f16 v16, v23, v53
	v_pack_b32_f16 v18, v48, v47
	v_sub_f16_e32 v25, v49, v46
	v_sub_f16_e32 v17, v17, v51
	;; [unrolled: 1-line block ×3, first 2 shown]
	ds_write2_b32 v55, v16, v18 offset0:56 offset1:108
	v_pack_b32_f16 v16, v52, v43
	v_pack_b32_f16 v18, v20, v37
	ds_write2_b32 v55, v16, v18 offset0:160 offset1:212
	v_pack_b32_f16 v16, v25, v38
	v_pack_b32_f16 v17, v17, v19
	ds_write2_b32 v57, v16, v17 offset0:8 offset1:60
	v_lshlrev_b32_e32 v16, 4, v26
	v_sub_co_u32_e64 v14, s[0:1], v14, v16
	v_subbrev_co_u32_e64 v15, s[0:1], 0, v15, s[0:1]
	s_waitcnt lgkmcnt(0)
	; wave barrier
	s_waitcnt lgkmcnt(0)
	global_load_dword v37, v[14:15], off offset:1196
	global_load_dword v38, v[14:15], off offset:1404
	;; [unrolled: 1-line block ×6, first 2 shown]
	ds_read2_b32 v[17:18], v29 offset1:52
	ds_read2_b32 v[14:15], v55 offset0:56 offset1:108
	ds_read2_b32 v[19:20], v55 offset0:160 offset1:212
	ds_read2_b32 v[21:22], v29 offset0:104 offset1:156
	ds_read2_b32 v[53:54], v56 offset0:80 offset1:132
	ds_read2_b32 v[23:24], v57 offset0:8 offset1:60
	s_waitcnt lgkmcnt(5)
	v_lshrrev_b32_e32 v16, 16, v17
	s_waitcnt lgkmcnt(4)
	v_lshrrev_b32_e32 v25, 16, v14
	v_lshrrev_b32_e32 v43, 16, v15
	s_waitcnt lgkmcnt(3)
	v_lshrrev_b32_e32 v44, 16, v19
	;; [unrolled: 3-line block ×3, first 2 shown]
	v_lshrrev_b32_e32 v47, 16, v24
	v_lshrrev_b32_e32 v28, 16, v18
	;; [unrolled: 1-line block ×6, first 2 shown]
	s_waitcnt vmcnt(5)
	v_mul_f16_sdwa v50, v25, v37 dst_sel:DWORD dst_unused:UNUSED_PAD src0_sel:DWORD src1_sel:WORD_1
	v_fma_f16 v50, v14, v37, -v50
	v_mul_f16_sdwa v14, v14, v37 dst_sel:DWORD dst_unused:UNUSED_PAD src0_sel:DWORD src1_sel:WORD_1
	v_fma_f16 v14, v25, v37, v14
	s_waitcnt vmcnt(4)
	v_mul_f16_sdwa v25, v43, v38 dst_sel:DWORD dst_unused:UNUSED_PAD src0_sel:DWORD src1_sel:WORD_1
	v_fma_f16 v25, v15, v38, -v25
	v_mul_f16_sdwa v15, v15, v38 dst_sel:DWORD dst_unused:UNUSED_PAD src0_sel:DWORD src1_sel:WORD_1
	v_fma_f16 v51, v43, v38, v15
	;; [unrolled: 5-line block ×6, first 2 shown]
	v_sub_f16_e32 v15, v17, v50
	v_sub_f16_e32 v44, v16, v14
	v_fma_f16 v14, v17, 2.0, -v15
	v_sub_f16_e32 v17, v18, v25
	v_sub_f16_e32 v45, v28, v51
	;; [unrolled: 1-line block ×3, first 2 shown]
	v_fma_f16 v43, v16, 2.0, -v44
	v_fma_f16 v16, v18, 2.0, -v17
	;; [unrolled: 1-line block ×4, first 2 shown]
	v_sub_f16_e32 v21, v22, v61
	v_sub_f16_e32 v23, v53, v62
	;; [unrolled: 1-line block ×4, first 2 shown]
	v_fma_f16 v20, v22, 2.0, -v21
	v_fma_f16 v22, v53, 2.0, -v23
	v_sub_f16_e32 v25, v54, v64
	v_sub_f16_e32 v53, v58, v24
	v_pack_b32_f16 v28, v14, v43
	v_pack_b32_f16 v59, v16, v46
	v_fma_f16 v48, v48, 2.0, -v47
	v_fma_f16 v49, v49, 2.0, -v50
	;; [unrolled: 1-line block ×4, first 2 shown]
	v_pack_b32_f16 v58, v15, v44
	ds_write2_b32 v29, v28, v59 offset1:52
	v_pack_b32_f16 v28, v17, v45
	v_sub_f16_e32 v51, v52, v63
	ds_write2_b32 v55, v58, v28 offset0:56 offset1:108
	v_pack_b32_f16 v28, v18, v48
	v_pack_b32_f16 v59, v20, v49
	v_fma_f16 v52, v52, 2.0, -v51
	v_pack_b32_f16 v58, v19, v47
	ds_write2_b32 v29, v28, v59 offset0:104 offset1:156
	v_pack_b32_f16 v28, v21, v50
	ds_write2_b32 v55, v58, v28 offset0:160 offset1:212
	v_pack_b32_f16 v28, v22, v52
	v_pack_b32_f16 v58, v24, v54
	;; [unrolled: 1-line block ×3, first 2 shown]
	ds_write2_b32 v56, v28, v58 offset0:80 offset1:132
	v_pack_b32_f16 v28, v25, v53
	ds_write2_b32 v57, v55, v28 offset0:8 offset1:60
	v_lshlrev_b32_e32 v28, 2, v26
	s_waitcnt lgkmcnt(0)
	; wave barrier
	s_waitcnt lgkmcnt(0)
	s_and_saveexec_b64 s[0:1], vcc
	s_cbranch_execz .LBB0_9
; %bb.8:
	global_load_dword v55, v27, s[6:7] offset:2496
	s_add_u32 s2, s6, 0x9c0
	s_addc_u32 s3, s7, 0
	global_load_dword v67, v27, s[2:3] offset:192
	global_load_dword v68, v27, s[2:3] offset:384
	;; [unrolled: 1-line block ×10, first 2 shown]
	ds_read_b32 v56, v29
	global_load_dword v80, v27, s[2:3] offset:2112
	global_load_dword v81, v27, s[2:3] offset:2304
	v_add_u32_e32 v77, 0x200, v28
	v_add_u32_e32 v78, 0x400, v28
	;; [unrolled: 1-line block ×3, first 2 shown]
	s_waitcnt lgkmcnt(0)
	v_lshrrev_b32_e32 v57, 16, v56
	s_waitcnt vmcnt(12)
	v_mul_f16_sdwa v58, v57, v55 dst_sel:DWORD dst_unused:UNUSED_PAD src0_sel:DWORD src1_sel:WORD_1
	v_mul_f16_sdwa v59, v56, v55 dst_sel:DWORD dst_unused:UNUSED_PAD src0_sel:DWORD src1_sel:WORD_1
	v_fma_f16 v56, v56, v55, -v58
	v_fma_f16 v55, v57, v55, v59
	v_pack_b32_f16 v55, v56, v55
	ds_write_b32 v29, v55
	ds_read2_b32 v[55:56], v28 offset0:48 offset1:96
	ds_read2_b32 v[57:58], v28 offset0:144 offset1:192
	;; [unrolled: 1-line block ×6, first 2 shown]
	s_waitcnt lgkmcnt(5)
	v_lshrrev_b32_e32 v82, 16, v55
	s_waitcnt vmcnt(11)
	v_mul_f16_sdwa v83, v55, v67 dst_sel:DWORD dst_unused:UNUSED_PAD src0_sel:DWORD src1_sel:WORD_1
	v_lshrrev_b32_e32 v84, 16, v56
	s_waitcnt vmcnt(10)
	v_mul_f16_sdwa v85, v56, v68 dst_sel:DWORD dst_unused:UNUSED_PAD src0_sel:DWORD src1_sel:WORD_1
	s_waitcnt lgkmcnt(4)
	v_lshrrev_b32_e32 v86, 16, v57
	s_waitcnt vmcnt(9)
	v_mul_f16_sdwa v87, v57, v69 dst_sel:DWORD dst_unused:UNUSED_PAD src0_sel:DWORD src1_sel:WORD_1
	v_lshrrev_b32_e32 v88, 16, v58
	s_waitcnt vmcnt(8)
	v_mul_f16_sdwa v89, v58, v70 dst_sel:DWORD dst_unused:UNUSED_PAD src0_sel:DWORD src1_sel:WORD_1
	;; [unrolled: 7-line block ×3, first 2 shown]
	s_waitcnt lgkmcnt(2)
	v_lshrrev_b32_e32 v94, 16, v61
	s_waitcnt vmcnt(5)
	v_mul_f16_sdwa v95, v61, v73 dst_sel:DWORD dst_unused:UNUSED_PAD src0_sel:DWORD src1_sel:WORD_1
	v_lshrrev_b32_e32 v96, 16, v62
	v_mul_f16_sdwa v102, v82, v67 dst_sel:DWORD dst_unused:UNUSED_PAD src0_sel:DWORD src1_sel:WORD_1
	v_fma_f16 v82, v82, v67, v83
	v_mul_f16_sdwa v83, v84, v68 dst_sel:DWORD dst_unused:UNUSED_PAD src0_sel:DWORD src1_sel:WORD_1
	s_waitcnt vmcnt(4)
	v_mul_f16_sdwa v97, v62, v74 dst_sel:DWORD dst_unused:UNUSED_PAD src0_sel:DWORD src1_sel:WORD_1
	s_waitcnt lgkmcnt(1)
	v_lshrrev_b32_e32 v98, 16, v63
	s_waitcnt vmcnt(3)
	v_mul_f16_sdwa v99, v63, v75 dst_sel:DWORD dst_unused:UNUSED_PAD src0_sel:DWORD src1_sel:WORD_1
	v_lshrrev_b32_e32 v100, 16, v64
	v_fma_f16 v84, v84, v68, v85
	v_mul_f16_sdwa v85, v86, v69 dst_sel:DWORD dst_unused:UNUSED_PAD src0_sel:DWORD src1_sel:WORD_1
	v_fma_f16 v86, v86, v69, v87
	v_mul_f16_sdwa v87, v88, v70 dst_sel:DWORD dst_unused:UNUSED_PAD src0_sel:DWORD src1_sel:WORD_1
	;; [unrolled: 2-line block ×6, first 2 shown]
	v_fma_f16 v55, v55, v67, -v102
	v_fma_f16 v56, v56, v68, -v83
	s_waitcnt vmcnt(2)
	v_mul_f16_sdwa v101, v64, v76 dst_sel:DWORD dst_unused:UNUSED_PAD src0_sel:DWORD src1_sel:WORD_1
	v_fma_f16 v96, v96, v74, v97
	v_mul_f16_sdwa v97, v98, v75 dst_sel:DWORD dst_unused:UNUSED_PAD src0_sel:DWORD src1_sel:WORD_1
	v_fma_f16 v98, v98, v75, v99
	v_mul_f16_sdwa v99, v100, v76 dst_sel:DWORD dst_unused:UNUSED_PAD src0_sel:DWORD src1_sel:WORD_1
	v_fma_f16 v57, v57, v69, -v85
	v_fma_f16 v58, v58, v70, -v87
	;; [unrolled: 1-line block ×6, first 2 shown]
	v_pack_b32_f16 v55, v55, v82
	v_pack_b32_f16 v56, v56, v84
	v_fma_f16 v63, v63, v75, -v97
	v_fma_f16 v64, v64, v76, -v99
	v_pack_b32_f16 v57, v57, v86
	v_pack_b32_f16 v58, v58, v88
	;; [unrolled: 1-line block ×6, first 2 shown]
	ds_write2_b32 v28, v55, v56 offset0:48 offset1:96
	ds_write2_b32 v28, v57, v58 offset0:144 offset1:192
	;; [unrolled: 1-line block ×4, first 2 shown]
	v_fma_f16 v55, v100, v76, v101
	v_pack_b32_f16 v63, v63, v98
	v_pack_b32_f16 v55, v64, v55
	ds_write2_b32 v78, v63, v55 offset0:176 offset1:224
	s_waitcnt lgkmcnt(5)
	v_lshrrev_b32_e32 v55, 16, v65
	s_waitcnt vmcnt(1)
	v_mul_f16_sdwa v56, v55, v80 dst_sel:DWORD dst_unused:UNUSED_PAD src0_sel:DWORD src1_sel:WORD_1
	v_mul_f16_sdwa v57, v65, v80 dst_sel:DWORD dst_unused:UNUSED_PAD src0_sel:DWORD src1_sel:WORD_1
	v_fma_f16 v56, v65, v80, -v56
	v_fma_f16 v55, v55, v80, v57
	v_pack_b32_f16 v55, v56, v55
	v_lshrrev_b32_e32 v56, 16, v66
	s_waitcnt vmcnt(0)
	v_mul_f16_sdwa v57, v56, v81 dst_sel:DWORD dst_unused:UNUSED_PAD src0_sel:DWORD src1_sel:WORD_1
	v_mul_f16_sdwa v58, v66, v81 dst_sel:DWORD dst_unused:UNUSED_PAD src0_sel:DWORD src1_sel:WORD_1
	v_fma_f16 v57, v66, v81, -v57
	v_fma_f16 v56, v56, v81, v58
	v_pack_b32_f16 v56, v57, v56
	ds_write2_b32 v79, v55, v56 offset0:16 offset1:64
.LBB0_9:
	s_or_b64 exec, exec, s[0:1]
	s_waitcnt lgkmcnt(0)
	; wave barrier
	s_waitcnt lgkmcnt(0)
	s_and_saveexec_b64 s[0:1], vcc
	s_cbranch_execz .LBB0_11
; %bb.10:
	v_add_u32_e32 v22, 0x400, v29
	v_add_u32_e32 v24, 0x600, v29
	ds_read2_b32 v[14:15], v29 offset1:48
	ds_read2_b32 v[16:17], v29 offset0:96 offset1:144
	ds_read2_b32 v[18:19], v29 offset0:192 offset1:240
	;; [unrolled: 1-line block ×5, first 2 shown]
	ds_read_b32 v32, v29 offset:2304
	s_waitcnt lgkmcnt(6)
	v_lshrrev_b32_e32 v43, 16, v14
	v_lshrrev_b32_e32 v44, 16, v15
	s_waitcnt lgkmcnt(5)
	v_lshrrev_b32_e32 v46, 16, v16
	v_lshrrev_b32_e32 v45, 16, v17
	;; [unrolled: 3-line block ×6, first 2 shown]
	s_waitcnt lgkmcnt(0)
	v_lshrrev_b32_e32 v31, 16, v32
.LBB0_11:
	s_or_b64 exec, exec, s[0:1]
	s_waitcnt lgkmcnt(0)
	; wave barrier
	s_and_saveexec_b64 s[0:1], vcc
	s_cbranch_execz .LBB0_13
; %bb.12:
	v_sub_f16_e32 v55, v15, v32
	v_mul_f16_e32 v56, 0xba95, v55
	v_add_f16_e32 v57, v31, v44
	s_movk_i32 s2, 0x388b
	v_sub_f16_e32 v59, v16, v25
	v_fma_f16 v58, v57, s2, v56
	v_mul_f16_e32 v60, 0xbb7b, v59
	v_add_f16_e32 v61, v53, v46
	s_mov_b32 s3, 0xb5ac
	v_add_f16_e32 v58, v43, v58
	v_fma_f16 v62, v61, s3, v60
	v_add_f16_e32 v58, v62, v58
	v_sub_f16_e32 v62, v17, v24
	v_mul_f16_e32 v63, 0xb3a8, v62
	v_add_f16_e32 v64, v54, v45
	s_mov_b32 s4, 0xbbc4
	v_fma_f16 v65, v64, s4, v63
	v_add_f16_e32 v58, v65, v58
	v_sub_f16_e32 v65, v18, v23
	v_mul_f16_e32 v66, 0x394e, v65
	v_add_f16_e32 v67, v51, v48
	s_mov_b32 s5, 0xb9fd
	v_fma_f16 v68, v67, s5, v66
	v_add_f16_e32 v58, v68, v58
	v_sub_f16_e32 v68, v19, v22
	v_mul_f16_e32 v69, 0x3bf1, v68
	v_add_f16_e32 v70, v52, v47
	s_movk_i32 s14, 0x2fb7
	v_fma_f16 v71, v70, s14, v69
	v_add_f16_e32 v58, v71, v58
	v_sub_f16_e32 v71, v20, v21
	v_mul_f16_e32 v72, 0x3770, v71
	v_add_f16_e32 v73, v50, v49
	s_movk_i32 s15, 0x3b15
	v_fma_f16 v74, v73, s15, v72
	v_sub_f16_e32 v75, v44, v31
	v_add_f16_e32 v58, v74, v58
	v_add_f16_e32 v74, v32, v15
	v_mul_f16_e32 v76, 0xba95, v75
	v_sub_f16_e32 v79, v46, v53
	v_fma_f16 v77, v74, s2, -v76
	v_add_f16_e32 v78, v25, v16
	v_mul_f16_e32 v80, 0xbb7b, v79
	v_add_f16_e32 v77, v14, v77
	v_fma_f16 v81, v78, s3, -v80
	v_sub_f16_e32 v82, v45, v54
	v_add_f16_e32 v77, v81, v77
	v_add_f16_e32 v81, v24, v17
	v_mul_f16_e32 v83, 0xb3a8, v82
	v_fma_f16 v84, v81, s4, -v83
	v_sub_f16_e32 v85, v48, v51
	v_add_f16_e32 v77, v84, v77
	v_add_f16_e32 v84, v23, v18
	v_mul_f16_e32 v86, 0x394e, v85
	;; [unrolled: 5-line block ×4, first 2 shown]
	v_fma_f16 v93, v90, s15, -v92
	v_add_f16_e32 v77, v93, v77
	v_mul_f16_e32 v93, 0xbbf1, v55
	v_fma_f16 v94, v57, s14, v93
	v_mul_f16_e32 v95, 0xb3a8, v59
	v_add_f16_e32 v94, v43, v94
	v_fma_f16 v96, v61, s4, v95
	v_add_f16_e32 v94, v96, v94
	v_mul_f16_e32 v96, 0x3b7b, v62
	v_fma_f16 v97, v64, s3, v96
	v_add_f16_e32 v94, v97, v94
	v_mul_f16_e32 v97, 0x3770, v65
	;; [unrolled: 3-line block ×5, first 2 shown]
	v_fma_f16 v101, v74, s14, -v100
	v_mul_f16_e32 v102, 0xb3a8, v79
	v_add_f16_e32 v101, v14, v101
	v_fma_f16 v103, v78, s4, -v102
	v_add_f16_e32 v101, v103, v101
	v_mul_f16_e32 v103, 0x3b7b, v82
	v_fma_f16 v104, v81, s3, -v103
	v_add_f16_e32 v101, v104, v101
	v_mul_f16_e32 v104, 0x3770, v85
	;; [unrolled: 3-line block ×5, first 2 shown]
	v_fma_f16 v108, v57, s3, v107
	v_mul_f16_e32 v109, 0x394e, v59
	v_add_f16_e32 v108, v43, v108
	v_fma_f16 v110, v61, s5, v109
	v_add_f16_e32 v108, v110, v108
	v_mul_f16_e32 v110, 0x3770, v62
	v_fma_f16 v111, v64, s15, v110
	v_add_f16_e32 v108, v111, v108
	v_mul_f16_e32 v111, 0xbbf1, v65
	;; [unrolled: 3-line block ×5, first 2 shown]
	v_fma_f16 v115, v74, s3, -v114
	v_mul_f16_e32 v116, 0x394e, v79
	v_add_f16_e32 v115, v14, v115
	v_fma_f16 v117, v78, s5, -v116
	v_add_f16_e32 v115, v117, v115
	v_mul_f16_e32 v117, 0x3770, v82
	v_fma_f16 v118, v81, s15, -v117
	v_add_f16_e32 v115, v118, v115
	v_mul_f16_e32 v118, 0xbbf1, v85
	;; [unrolled: 3-line block ×5, first 2 shown]
	v_fma_f16 v122, v57, s5, v121
	v_mul_f16_e32 v123, 0x3bf1, v59
	v_add_f16_e32 v122, v43, v122
	v_fma_f16 v124, v61, s14, v123
	v_add_f16_e32 v122, v124, v122
	v_mul_f16_e32 v124, 0xba95, v62
	v_fma_f16 v125, v64, s2, v124
	v_add_f16_e32 v122, v125, v122
	v_mul_f16_e32 v125, 0x33a8, v65
	;; [unrolled: 3-line block ×5, first 2 shown]
	v_fma_f16 v129, v74, s5, -v128
	v_mul_f16_e32 v130, 0x3bf1, v79
	v_add_f16_e32 v129, v14, v129
	v_fma_f16 v131, v78, s14, -v130
	v_fma_f16 v56, v57, s2, -v56
	v_add_f16_e32 v129, v131, v129
	v_mul_f16_e32 v131, 0xba95, v82
	v_add_f16_e32 v56, v43, v56
	v_fma_f16 v60, v61, s3, -v60
	v_fma_f16 v132, v81, s2, -v131
	v_add_f16_e32 v56, v60, v56
	v_fma_f16 v60, v64, s4, -v63
	v_add_f16_e32 v129, v132, v129
	v_mul_f16_e32 v132, 0x33a8, v85
	v_add_f16_e32 v56, v60, v56
	v_fma_f16 v60, v67, s5, -v66
	v_fma_f16 v133, v84, s4, -v132
	v_add_f16_e32 v56, v60, v56
	;; [unrolled: 7-line block ×3, first 2 shown]
	v_fma_f16 v60, v74, s2, v76
	v_add_f16_e32 v129, v134, v129
	v_mul_f16_e32 v134, 0xbb7b, v91
	v_add_f16_e32 v60, v14, v60
	v_fma_f16 v63, v78, s3, v80
	v_fma_f16 v135, v90, s3, -v134
	v_add_f16_e32 v60, v63, v60
	v_fma_f16 v63, v81, s4, v83
	v_add_f16_e32 v129, v135, v129
	v_mul_f16_e32 v135, 0xb3a8, v55
	v_add_f16_e32 v60, v63, v60
	v_fma_f16 v63, v84, s5, v86
	v_fma_f16 v136, v57, s4, v135
	v_mul_f16_e32 v137, 0x3770, v59
	v_add_f16_e32 v60, v63, v60
	v_fma_f16 v63, v87, s14, v89
	v_add_f16_e32 v136, v43, v136
	v_fma_f16 v138, v61, s15, v137
	v_fma_f16 v135, v57, s4, -v135
	s_movk_i32 s21, 0x3770
	v_fma_f16 v121, v57, s5, -v121
	v_fma_f16 v107, v57, s3, -v107
	;; [unrolled: 1-line block ×3, first 2 shown]
	v_add_f16_e32 v60, v63, v60
	v_fma_f16 v63, v90, s15, v92
	v_mul_f16_e32 v57, 0x3b15, v57
	v_add_f16_e32 v136, v138, v136
	v_mul_f16_e32 v138, 0xb94e, v62
	v_add_f16_e32 v135, v43, v135
	v_fma_f16 v137, v61, s15, -v137
	s_movk_i32 s26, 0x3a95
	v_add_f16_e32 v121, v43, v121
	v_fma_f16 v123, v61, s14, -v123
	v_add_f16_e32 v107, v43, v107
	v_fma_f16 v109, v61, s5, -v109
	;; [unrolled: 2-line block ×3, first 2 shown]
	v_add_f16_e32 v60, v63, v60
	v_fma_f16 v63, v55, s21, v57
	v_mul_f16_e32 v61, 0x388b, v61
	v_fma_f16 v139, v64, s5, v138
	v_add_f16_e32 v135, v137, v135
	v_fma_f16 v137, v64, s5, -v138
	s_movk_i32 s20, 0x3bf1
	v_add_f16_e32 v121, v123, v121
	v_fma_f16 v123, v64, s2, -v124
	v_add_f16_e32 v107, v109, v107
	v_fma_f16 v109, v64, s15, -v110
	;; [unrolled: 2-line block ×3, first 2 shown]
	v_add_f16_e32 v63, v43, v63
	v_fma_f16 v66, v59, s26, v61
	v_mul_f16_e32 v64, 0x2fb7, v64
	v_add_f16_e32 v63, v66, v63
	v_fma_f16 v66, v62, s20, v64
	v_add_f16_e32 v136, v139, v136
	v_mul_f16_e32 v139, 0x3a95, v65
	s_movk_i32 s23, 0x3b7b
	v_add_f16_e32 v63, v66, v63
	v_mul_f16_e32 v66, 0xb5ac, v67
	v_fma_f16 v140, v67, s2, v139
	v_add_f16_e32 v135, v137, v135
	v_fma_f16 v137, v67, s2, -v139
	v_add_f16_e32 v121, v123, v121
	v_fma_f16 v123, v67, s4, -v125
	v_add_f16_e32 v107, v109, v107
	v_fma_f16 v109, v67, s14, -v111
	v_add_f16_e32 v93, v95, v93
	v_fma_f16 v95, v67, s15, -v97
	v_fma_f16 v67, v65, s23, v66
	s_movk_i32 s19, 0x394e
	v_add_f16_e32 v63, v67, v63
	v_mul_f16_e32 v67, 0xb9fd, v70
	v_fma_f16 v69, v68, s19, v67
	v_add_f16_e32 v136, v140, v136
	v_mul_f16_e32 v140, 0xbb7b, v68
	s_movk_i32 s25, 0x33a8
	v_add_f16_e32 v63, v69, v63
	v_mul_f16_e32 v69, 0xbbc4, v73
	v_add_f16_e32 v15, v15, v14
	v_fma_f16 v141, v70, s3, v140
	v_add_f16_e32 v135, v137, v135
	v_fma_f16 v137, v70, s3, -v140
	v_add_f16_e32 v121, v123, v121
	v_fma_f16 v123, v70, s15, -v126
	;; [unrolled: 2-line block ×4, first 2 shown]
	v_fma_f16 v70, v71, s25, v69
	s_mov_b32 s19, 0xb770
	v_add_f16_e32 v15, v16, v15
	v_add_f16_e32 v136, v141, v136
	v_mul_f16_e32 v141, 0x3bf1, v71
	s_mov_b32 s16, 0xba95
	v_add_f16_e32 v63, v70, v63
	v_mul_f16_e32 v70, 0xb770, v75
	v_add_f16_e32 v15, v17, v15
	v_add_f16_e32 v16, v44, v43
	v_fma_f16 v17, v55, s19, v57
	v_fma_f16 v142, v73, s14, v141
	v_add_f16_e32 v135, v137, v135
	s_mov_b32 s22, 0xbbf1
	v_fma_f16 v137, v73, s14, -v141
	v_add_f16_e32 v121, v123, v121
	v_fma_f16 v123, v73, s3, -v127
	v_add_f16_e32 v107, v109, v107
	v_fma_f16 v109, v73, s2, -v113
	v_add_f16_e32 v93, v95, v93
	v_fma_f16 v95, v73, s5, -v99
	v_fma_f16 v72, v74, s15, v70
	v_mul_f16_e32 v73, 0xba95, v79
	v_add_f16_e32 v15, v18, v15
	v_add_f16_e32 v16, v46, v16
	;; [unrolled: 1-line block ×3, first 2 shown]
	v_fma_f16 v18, v59, s16, v61
	v_add_f16_e32 v136, v142, v136
	v_mul_f16_e32 v142, 0xb3a8, v75
	s_mov_b32 s17, 0xbb7b
	v_add_f16_e32 v72, v14, v72
	v_fma_f16 v75, v78, s2, v73
	v_add_f16_e32 v16, v45, v16
	v_add_f16_e32 v17, v18, v17
	v_fma_f16 v18, v62, s22, v64
	s_mov_b32 s24, 0xb94e
	v_add_f16_e32 v72, v75, v72
	v_mul_f16_e32 v75, 0xbbf1, v82
	v_add_f16_e32 v16, v48, v16
	v_add_f16_e32 v17, v18, v17
	v_fma_f16 v18, v65, s17, v66
	v_fma_f16 v143, v74, s4, -v142
	v_mul_f16_e32 v144, 0x3770, v79
	s_mov_b32 s18, 0xb3a8
	v_fma_f16 v76, v81, s14, v75
	v_add_f16_e32 v15, v19, v15
	v_add_f16_e32 v16, v47, v16
	;; [unrolled: 1-line block ×3, first 2 shown]
	v_fma_f16 v18, v68, s24, v67
	v_add_f16_e32 v143, v14, v143
	v_fma_f16 v145, v78, s15, -v144
	v_add_f16_e32 v72, v76, v72
	v_mul_f16_e32 v76, 0xbb7b, v85
	v_add_f16_e32 v15, v20, v15
	v_add_f16_e32 v16, v49, v16
	;; [unrolled: 1-line block ×3, first 2 shown]
	v_fma_f16 v18, v71, s18, v69
	v_add_f16_e32 v143, v145, v143
	v_mul_f16_e32 v145, 0xb94e, v82
	v_add_f16_e32 v135, v137, v135
	v_fma_f16 v137, v74, s4, v142
	v_add_f16_e32 v121, v123, v121
	v_fma_f16 v123, v74, s5, v128
	;; [unrolled: 2-line block ×4, first 2 shown]
	v_fma_f16 v79, v84, s3, v76
	v_add_f16_e32 v15, v21, v15
	v_add_f16_e32 v16, v50, v16
	;; [unrolled: 1-line block ×3, first 2 shown]
	v_fma_f16 v18, v74, s15, -v70
	v_fma_f16 v146, v81, s5, -v145
	v_add_f16_e32 v137, v14, v137
	v_add_f16_e32 v123, v14, v123
	;; [unrolled: 1-line block ×4, first 2 shown]
	v_fma_f16 v96, v78, s4, v102
	v_add_f16_e32 v72, v79, v72
	v_mul_f16_e32 v79, 0xb94e, v88
	v_add_f16_e32 v15, v22, v15
	v_add_f16_e32 v16, v52, v16
	;; [unrolled: 1-line block ×3, first 2 shown]
	v_fma_f16 v18, v78, s2, -v73
	v_add_f16_e32 v143, v146, v143
	v_mul_f16_e32 v146, 0x3a95, v85
	v_fma_f16 v124, v78, s14, v130
	v_fma_f16 v110, v78, s5, v116
	v_add_f16_e32 v95, v96, v95
	v_fma_f16 v96, v81, s3, v103
	v_fma_f16 v80, v87, s5, v79
	v_add_f16_e32 v15, v23, v15
	v_add_f16_e32 v16, v51, v16
	;; [unrolled: 1-line block ×3, first 2 shown]
	v_fma_f16 v18, v81, s14, -v75
	v_fma_f16 v147, v84, s2, -v146
	v_fma_f16 v138, v78, s15, v144
	v_add_f16_e32 v123, v124, v123
	v_fma_f16 v124, v81, s2, v131
	v_add_f16_e32 v109, v110, v109
	;; [unrolled: 2-line block ×4, first 2 shown]
	v_mul_f16_e32 v80, 0xb3a8, v91
	v_add_f16_e32 v15, v24, v15
	v_add_f16_e32 v16, v54, v16
	;; [unrolled: 1-line block ×3, first 2 shown]
	v_fma_f16 v18, v84, s3, -v76
	v_add_f16_e32 v143, v147, v143
	v_mul_f16_e32 v147, 0xbb7b, v88
	v_add_f16_e32 v137, v138, v137
	v_fma_f16 v138, v81, s5, v145
	v_add_f16_e32 v123, v124, v123
	v_fma_f16 v124, v84, s4, v132
	;; [unrolled: 2-line block ×4, first 2 shown]
	v_fma_f16 v82, v90, s4, v80
	v_add_f16_e32 v15, v25, v15
	v_add_f16_e32 v16, v53, v16
	;; [unrolled: 1-line block ×3, first 2 shown]
	v_fma_f16 v18, v87, s5, -v79
	v_fma_f16 v148, v87, s3, -v147
	v_add_f16_e32 v137, v138, v137
	v_fma_f16 v138, v84, s2, v146
	v_add_f16_e32 v123, v124, v123
	v_fma_f16 v124, v87, s15, v133
	;; [unrolled: 2-line block ×4, first 2 shown]
	v_add_f16_e32 v72, v82, v72
	v_add_f16_e32 v15, v32, v15
	;; [unrolled: 1-line block ×4, first 2 shown]
	v_fma_f16 v18, v90, s4, -v80
	v_add_f16_e32 v143, v148, v143
	v_mul_f16_e32 v148, 0x3bf1, v91
	v_add_f16_e32 v137, v138, v137
	v_fma_f16 v138, v87, s3, v147
	v_add_f16_e32 v123, v124, v123
	v_fma_f16 v124, v90, s3, v134
	;; [unrolled: 2-line block ×3, first 2 shown]
	v_add_f16_e32 v95, v96, v95
	v_add_f16_e32 v14, v18, v14
	v_lshlrev_b32_e32 v18, 2, v30
	v_pack_b32_f16 v19, v72, v63
	v_pack_b32_f16 v15, v15, v16
	v_fma_f16 v149, v90, s14, -v148
	v_add_f16_e32 v137, v138, v137
	v_fma_f16 v138, v90, s14, v148
	v_add_f16_e32 v123, v124, v123
	v_add_f16_e32 v109, v110, v109
	ds_write2_b32 v18, v15, v19 offset1:1
	v_pack_b32_f16 v15, v95, v93
	v_pack_b32_f16 v16, v60, v56
	v_add_f16_e32 v143, v149, v143
	v_add_f16_e32 v137, v138, v137
	ds_write2_b32 v18, v16, v15 offset0:2 offset1:3
	v_pack_b32_f16 v15, v123, v121
	v_pack_b32_f16 v16, v109, v107
	ds_write2_b32 v18, v16, v15 offset0:4 offset1:5
	v_pack_b32_f16 v15, v143, v136
	v_pack_b32_f16 v16, v137, v135
	;; [unrolled: 3-line block ×4, first 2 shown]
	v_pack_b32_f16 v14, v14, v17
	ds_write2_b32 v18, v16, v15 offset0:10 offset1:11
	ds_write_b32 v18, v14 offset:48
.LBB0_13:
	s_or_b64 exec, exec, s[0:1]
	s_waitcnt lgkmcnt(0)
	; wave barrier
	s_waitcnt lgkmcnt(0)
	ds_read2_b32 v[14:15], v29 offset1:52
	ds_read2_b32 v[16:17], v29 offset0:104 offset1:156
	v_add_u32_e32 v30, 0x400, v29
	ds_read2_b32 v[18:19], v30 offset0:56 offset1:108
	ds_read2_b32 v[20:21], v30 offset0:160 offset1:212
	v_add_u32_e32 v44, 0x200, v29
	s_waitcnt lgkmcnt(2)
	v_lshrrev_b32_e32 v32, 16, v17
	ds_read2_b32 v[22:23], v44 offset0:80 offset1:132
	v_mul_f16_sdwa v55, v10, v32 dst_sel:DWORD dst_unused:UNUSED_PAD src0_sel:WORD_1 src1_sel:DWORD
	s_waitcnt lgkmcnt(2)
	v_lshrrev_b32_e32 v43, 16, v18
	v_fma_f16 v55, v10, v17, v55
	v_mul_f16_sdwa v17, v10, v17 dst_sel:DWORD dst_unused:UNUSED_PAD src0_sel:WORD_1 src1_sel:DWORD
	v_fma_f16 v10, v10, v32, -v17
	v_mul_f16_sdwa v17, v11, v43 dst_sel:DWORD dst_unused:UNUSED_PAD src0_sel:WORD_1 src1_sel:DWORD
	v_add_u32_e32 v45, 0x800, v29
	s_waitcnt lgkmcnt(1)
	v_lshrrev_b32_e32 v46, 16, v21
	v_fma_f16 v17, v11, v18, v17
	v_mul_f16_sdwa v18, v11, v18 dst_sel:DWORD dst_unused:UNUSED_PAD src0_sel:WORD_1 src1_sel:DWORD
	ds_read2_b32 v[24:25], v45 offset0:8 offset1:60
	v_fma_f16 v11, v11, v43, -v18
	v_mul_f16_sdwa v18, v12, v46 dst_sel:DWORD dst_unused:UNUSED_PAD src0_sel:WORD_1 src1_sel:DWORD
	s_waitcnt lgkmcnt(1)
	v_lshrrev_b32_e32 v48, 16, v22
	v_fma_f16 v18, v12, v21, v18
	v_mul_f16_sdwa v21, v12, v21 dst_sel:DWORD dst_unused:UNUSED_PAD src0_sel:WORD_1 src1_sel:DWORD
	v_fma_f16 v12, v12, v46, -v21
	v_mul_f16_sdwa v21, v4, v48 dst_sel:DWORD dst_unused:UNUSED_PAD src0_sel:WORD_1 src1_sel:DWORD
	v_lshrrev_b32_e32 v49, 16, v19
	v_fma_f16 v21, v4, v22, v21
	v_mul_f16_sdwa v22, v4, v22 dst_sel:DWORD dst_unused:UNUSED_PAD src0_sel:WORD_1 src1_sel:DWORD
	v_fma_f16 v4, v4, v48, -v22
	v_mul_f16_sdwa v22, v5, v49 dst_sel:DWORD dst_unused:UNUSED_PAD src0_sel:WORD_1 src1_sel:DWORD
	s_waitcnt lgkmcnt(0)
	v_lshrrev_b32_e32 v50, 16, v24
	v_fma_f16 v22, v5, v19, v22
	v_mul_f16_sdwa v19, v5, v19 dst_sel:DWORD dst_unused:UNUSED_PAD src0_sel:WORD_1 src1_sel:DWORD
	v_fma_f16 v5, v5, v49, -v19
	v_mul_f16_sdwa v19, v6, v50 dst_sel:DWORD dst_unused:UNUSED_PAD src0_sel:WORD_1 src1_sel:DWORD
	v_lshrrev_b32_e32 v52, 16, v23
	v_fma_f16 v19, v6, v24, v19
	v_mul_f16_sdwa v24, v6, v24 dst_sel:DWORD dst_unused:UNUSED_PAD src0_sel:WORD_1 src1_sel:DWORD
	v_fma_f16 v6, v6, v50, -v24
	v_mul_f16_sdwa v24, v7, v52 dst_sel:DWORD dst_unused:UNUSED_PAD src0_sel:WORD_1 src1_sel:DWORD
	;; [unrolled: 5-line block ×3, first 2 shown]
	v_lshrrev_b32_e32 v54, 16, v25
	v_fma_f16 v23, v8, v20, v23
	v_mul_f16_sdwa v20, v8, v20 dst_sel:DWORD dst_unused:UNUSED_PAD src0_sel:WORD_1 src1_sel:DWORD
	v_lshrrev_b32_e32 v31, 16, v14
	v_fma_f16 v8, v8, v53, -v20
	v_mul_f16_sdwa v20, v9, v54 dst_sel:DWORD dst_unused:UNUSED_PAD src0_sel:WORD_1 src1_sel:DWORD
	v_fma_f16 v20, v9, v25, v20
	v_mul_f16_sdwa v25, v9, v25 dst_sel:DWORD dst_unused:UNUSED_PAD src0_sel:WORD_1 src1_sel:DWORD
	v_sub_f16_e32 v17, v14, v17
	v_sub_f16_e32 v11, v31, v11
	;; [unrolled: 1-line block ×4, first 2 shown]
	v_lshrrev_b32_e32 v47, 16, v15
	v_fma_f16 v9, v9, v54, -v25
	v_fma_f16 v14, v14, 2.0, -v17
	v_fma_f16 v25, v31, 2.0, -v11
	;; [unrolled: 1-line block ×4, first 2 shown]
	v_sub_f16_e32 v31, v14, v31
	v_sub_f16_e32 v10, v25, v10
	v_add_f16_e32 v12, v17, v12
	v_sub_f16_e32 v18, v11, v18
	v_sub_f16_e32 v22, v15, v22
	;; [unrolled: 1-line block ×5, first 2 shown]
	v_lshrrev_b32_e32 v51, 16, v16
	v_fma_f16 v14, v14, 2.0, -v31
	v_fma_f16 v25, v25, 2.0, -v10
	v_fma_f16 v17, v17, 2.0, -v12
	v_fma_f16 v11, v11, 2.0, -v18
	v_fma_f16 v15, v15, 2.0, -v22
	v_fma_f16 v32, v47, 2.0, -v5
	v_fma_f16 v21, v21, 2.0, -v19
	v_fma_f16 v4, v4, 2.0, -v6
	v_sub_f16_e32 v21, v15, v21
	v_sub_f16_e32 v4, v32, v4
	v_add_f16_e32 v6, v22, v6
	v_sub_f16_e32 v19, v5, v19
	v_sub_f16_e32 v23, v16, v23
	;; [unrolled: 1-line block ×5, first 2 shown]
	v_pack_b32_f16 v14, v14, v25
	v_pack_b32_f16 v11, v17, v11
	v_fma_f16 v15, v15, 2.0, -v21
	v_fma_f16 v32, v32, 2.0, -v4
	;; [unrolled: 1-line block ×8, first 2 shown]
	s_waitcnt lgkmcnt(0)
	; wave barrier
	ds_write2_b32 v34, v14, v11 offset1:13
	v_pack_b32_f16 v10, v31, v10
	v_pack_b32_f16 v11, v12, v18
	v_sub_f16_e32 v24, v16, v24
	v_sub_f16_e32 v7, v43, v7
	v_add_f16_e32 v9, v23, v9
	v_sub_f16_e32 v20, v8, v20
	ds_write2_b32 v34, v10, v11 offset0:26 offset1:39
	v_pack_b32_f16 v10, v15, v32
	v_pack_b32_f16 v5, v22, v5
	v_fma_f16 v16, v16, 2.0, -v24
	v_fma_f16 v43, v43, 2.0, -v7
	;; [unrolled: 1-line block ×4, first 2 shown]
	ds_write2_b32 v35, v10, v5 offset1:13
	v_pack_b32_f16 v4, v21, v4
	v_pack_b32_f16 v5, v6, v19
	ds_write2_b32 v35, v4, v5 offset0:26 offset1:39
	v_pack_b32_f16 v4, v16, v43
	v_pack_b32_f16 v5, v23, v8
	ds_write2_b32 v36, v4, v5 offset1:13
	v_pack_b32_f16 v4, v24, v7
	v_pack_b32_f16 v5, v9, v20
	ds_write2_b32 v36, v4, v5 offset0:26 offset1:39
	s_waitcnt lgkmcnt(0)
	; wave barrier
	s_waitcnt lgkmcnt(0)
	ds_read2_b32 v[4:5], v29 offset1:52
	ds_read2_b32 v[6:7], v29 offset0:104 offset1:156
	ds_read2_b32 v[8:9], v44 offset0:80 offset1:132
	;; [unrolled: 1-line block ×5, first 2 shown]
	s_waitcnt lgkmcnt(4)
	v_lshrrev_b32_e32 v18, 16, v6
	v_mul_f16_sdwa v35, v0, v18 dst_sel:DWORD dst_unused:UNUSED_PAD src0_sel:WORD_1 src1_sel:DWORD
	s_waitcnt lgkmcnt(3)
	v_lshrrev_b32_e32 v19, 16, v8
	v_fma_f16 v35, v0, v6, v35
	v_mul_f16_sdwa v6, v0, v6 dst_sel:DWORD dst_unused:UNUSED_PAD src0_sel:WORD_1 src1_sel:DWORD
	v_fma_f16 v6, v0, v18, -v6
	v_mul_f16_sdwa v18, v1, v19 dst_sel:DWORD dst_unused:UNUSED_PAD src0_sel:WORD_1 src1_sel:DWORD
	s_waitcnt lgkmcnt(2)
	v_lshrrev_b32_e32 v20, 16, v10
	v_fma_f16 v18, v1, v8, v18
	v_mul_f16_sdwa v8, v1, v8 dst_sel:DWORD dst_unused:UNUSED_PAD src0_sel:WORD_1 src1_sel:DWORD
	v_fma_f16 v8, v1, v19, -v8
	;; [unrolled: 6-line block ×4, first 2 shown]
	v_mul_f16_sdwa v21, v33, v22 dst_sel:DWORD dst_unused:UNUSED_PAD src0_sel:WORD_1 src1_sel:DWORD
	v_lshrrev_b32_e32 v24, 16, v7
	v_fma_f16 v21, v33, v16, v21
	v_mul_f16_sdwa v16, v33, v16 dst_sel:DWORD dst_unused:UNUSED_PAD src0_sel:WORD_1 src1_sel:DWORD
	v_fma_f16 v16, v33, v22, -v16
	v_mul_f16_sdwa v22, v0, v24 dst_sel:DWORD dst_unused:UNUSED_PAD src0_sel:WORD_1 src1_sel:DWORD
	v_lshrrev_b32_e32 v25, 16, v9
	v_fma_f16 v22, v0, v7, v22
	v_mul_f16_sdwa v7, v0, v7 dst_sel:DWORD dst_unused:UNUSED_PAD src0_sel:WORD_1 src1_sel:DWORD
	v_fma_f16 v0, v0, v24, -v7
	;; [unrolled: 5-line block ×3, first 2 shown]
	v_mul_f16_sdwa v9, v2, v31 dst_sel:DWORD dst_unused:UNUSED_PAD src0_sel:WORD_1 src1_sel:DWORD
	v_add_f16_e32 v25, v18, v20
	v_lshrrev_b32_e32 v12, 16, v4
	v_fma_f16 v9, v2, v11, v9
	v_mul_f16_sdwa v11, v2, v11 dst_sel:DWORD dst_unused:UNUSED_PAD src0_sel:WORD_1 src1_sel:DWORD
	v_add_f16_e32 v24, v4, v18
	v_fma_f16 v4, v25, -0.5, v4
	v_sub_f16_e32 v25, v8, v14
	s_mov_b32 s0, 0xbaee
	s_movk_i32 s1, 0x3aee
	v_lshrrev_b32_e32 v32, 16, v15
	v_fma_f16 v2, v2, v31, -v11
	v_fma_f16 v31, v25, s0, v4
	v_fma_f16 v4, v25, s1, v4
	v_add_f16_e32 v25, v12, v8
	v_add_f16_e32 v8, v8, v14
	v_mul_f16_sdwa v11, v3, v32 dst_sel:DWORD dst_unused:UNUSED_PAD src0_sel:WORD_1 src1_sel:DWORD
	v_fma_f16 v8, v8, -0.5, v12
	v_sub_f16_e32 v12, v18, v20
	v_add_f16_e32 v18, v19, v21
	v_fma_f16 v11, v3, v15, v11
	v_mul_f16_sdwa v15, v3, v15 dst_sel:DWORD dst_unused:UNUSED_PAD src0_sel:WORD_1 src1_sel:DWORD
	v_add_f16_e32 v24, v24, v20
	v_fma_f16 v18, v18, -0.5, v35
	v_sub_f16_e32 v20, v10, v16
	v_fma_f16 v3, v3, v32, -v15
	v_fma_f16 v32, v20, s0, v18
	v_fma_f16 v18, v20, s1, v18
	v_add_f16_e32 v20, v6, v10
	v_add_f16_e32 v10, v10, v16
	v_lshrrev_b32_e32 v34, 16, v17
	v_fma_f16 v6, v10, -0.5, v6
	v_sub_f16_e32 v10, v19, v21
	v_mul_f16_sdwa v15, v33, v34 dst_sel:DWORD dst_unused:UNUSED_PAD src0_sel:WORD_1 src1_sel:DWORD
	v_add_f16_e32 v20, v20, v16
	v_fma_f16 v16, v10, s1, v6
	v_fma_f16 v15, v33, v17, v15
	v_mul_f16_sdwa v17, v33, v17 dst_sel:DWORD dst_unused:UNUSED_PAD src0_sel:WORD_1 src1_sel:DWORD
	v_add_f16_e32 v25, v25, v14
	v_fma_f16 v14, v12, s1, v8
	v_fma_f16 v8, v12, s0, v8
	v_add_f16_e32 v12, v35, v19
	v_fma_f16 v6, v10, s0, v6
	v_mul_f16_e32 v19, 0xbaee, v16
	v_mul_f16_e32 v16, 0.5, v16
	v_fma_f16 v17, v33, v34, -v17
	v_mul_f16_e32 v33, 0xbaee, v6
	v_fma_f16 v16, v32, s1, v16
	v_mul_f16_e32 v6, -0.5, v6
	v_fma_f16 v19, v32, 0.5, v19
	v_add_f16_e32 v32, v14, v16
	v_fma_f16 v6, v18, s1, v6
	v_sub_f16_e32 v14, v14, v16
	v_add_f16_e32 v16, v7, v11
	v_lshrrev_b32_e32 v23, 16, v5
	v_add_f16_e32 v12, v12, v21
	v_fma_f16 v33, v18, -0.5, v33
	v_add_f16_e32 v18, v8, v6
	v_sub_f16_e32 v6, v8, v6
	v_add_f16_e32 v8, v5, v7
	v_fma_f16 v5, v16, -0.5, v5
	v_sub_f16_e32 v16, v1, v3
	v_add_f16_e32 v10, v24, v12
	v_sub_f16_e32 v12, v24, v12
	v_fma_f16 v24, v16, s0, v5
	v_fma_f16 v5, v16, s1, v5
	v_add_f16_e32 v16, v23, v1
	v_add_f16_e32 v1, v1, v3
	;; [unrolled: 1-line block ×4, first 2 shown]
	v_fma_f16 v1, v1, -0.5, v23
	v_sub_f16_e32 v3, v7, v11
	v_add_f16_e32 v11, v9, v15
	v_fma_f16 v7, v3, s1, v1
	v_fma_f16 v1, v3, s0, v1
	v_add_f16_e32 v3, v22, v9
	v_fma_f16 v11, v11, -0.5, v22
	v_sub_f16_e32 v22, v2, v17
	v_fma_f16 v23, v22, s0, v11
	v_fma_f16 v11, v22, s1, v11
	v_add_f16_e32 v22, v0, v2
	v_add_f16_e32 v2, v2, v17
	v_fma_f16 v0, v2, -0.5, v0
	v_sub_f16_e32 v2, v9, v15
	v_fma_f16 v9, v2, s1, v0
	v_fma_f16 v0, v2, s0, v0
	v_add_f16_e32 v35, v25, v20
	v_sub_f16_e32 v20, v25, v20
	v_add_f16_e32 v3, v3, v15
	v_mul_f16_e32 v15, 0xbaee, v9
	v_mul_f16_e32 v25, 0xbaee, v0
	v_mul_f16_e32 v9, 0.5, v9
	v_mul_f16_e32 v0, -0.5, v0
	v_add_f16_e32 v21, v31, v19
	v_fma_f16 v9, v23, s1, v9
	v_fma_f16 v0, v11, s1, v0
	v_add_f16_e32 v34, v4, v33
	v_fma_f16 v15, v23, 0.5, v15
	v_fma_f16 v25, v11, -0.5, v25
	v_add_f16_e32 v23, v7, v9
	v_add_f16_e32 v11, v1, v0
	v_sub_f16_e32 v7, v7, v9
	v_sub_f16_e32 v0, v1, v0
	v_pack_b32_f16 v1, v10, v35
	v_pack_b32_f16 v9, v21, v32
	v_sub_f16_e32 v19, v31, v19
	v_sub_f16_e32 v4, v4, v33
	v_add_f16_e32 v22, v22, v17
	s_waitcnt lgkmcnt(0)
	; wave barrier
	ds_write2_b32 v29, v1, v9 offset1:52
	v_pack_b32_f16 v1, v34, v18
	v_pack_b32_f16 v9, v12, v20
	v_add_f16_e32 v2, v8, v3
	v_add_f16_e32 v17, v24, v15
	;; [unrolled: 1-line block ×3, first 2 shown]
	ds_write2_b32 v29, v1, v9 offset0:104 offset1:156
	v_pack_b32_f16 v1, v19, v14
	v_pack_b32_f16 v4, v4, v6
	v_add_f16_e32 v31, v5, v25
	v_sub_f16_e32 v3, v8, v3
	v_sub_f16_e32 v8, v24, v15
	;; [unrolled: 1-line block ×3, first 2 shown]
	ds_write2_b32 v44, v1, v4 offset0:80 offset1:132
	v_pack_b32_f16 v1, v2, v33
	v_pack_b32_f16 v2, v17, v23
	v_sub_f16_e32 v5, v5, v25
	ds_write2_b32 v30, v1, v2 offset0:56 offset1:108
	v_pack_b32_f16 v1, v31, v11
	v_pack_b32_f16 v2, v3, v15
	ds_write2_b32 v30, v1, v2 offset0:160 offset1:212
	v_pack_b32_f16 v1, v8, v7
	v_pack_b32_f16 v0, v5, v0
	ds_write2_b32 v45, v1, v0 offset0:8 offset1:60
	s_waitcnt lgkmcnt(0)
	; wave barrier
	s_waitcnt lgkmcnt(0)
	ds_read2_b32 v[0:1], v29 offset1:52
	ds_read2_b32 v[2:3], v30 offset0:56 offset1:108
	ds_read2_b32 v[6:7], v30 offset0:160 offset1:212
	;; [unrolled: 1-line block ×5, first 2 shown]
	s_waitcnt lgkmcnt(5)
	v_lshrrev_b32_e32 v12, 16, v0
	s_waitcnt lgkmcnt(4)
	v_lshrrev_b32_e32 v14, 16, v2
	v_mul_f16_sdwa v25, v37, v14 dst_sel:DWORD dst_unused:UNUSED_PAD src0_sel:WORD_1 src1_sel:DWORD
	v_lshrrev_b32_e32 v16, 16, v3
	v_fma_f16 v25, v37, v2, v25
	v_mul_f16_sdwa v2, v37, v2 dst_sel:DWORD dst_unused:UNUSED_PAD src0_sel:WORD_1 src1_sel:DWORD
	v_fma_f16 v2, v37, v14, -v2
	v_mul_f16_sdwa v14, v38, v16 dst_sel:DWORD dst_unused:UNUSED_PAD src0_sel:WORD_1 src1_sel:DWORD
	s_waitcnt lgkmcnt(3)
	v_lshrrev_b32_e32 v18, 16, v6
	v_fma_f16 v14, v38, v3, v14
	v_mul_f16_sdwa v3, v38, v3 dst_sel:DWORD dst_unused:UNUSED_PAD src0_sel:WORD_1 src1_sel:DWORD
	v_fma_f16 v3, v38, v16, -v3
	v_mul_f16_sdwa v16, v39, v18 dst_sel:DWORD dst_unused:UNUSED_PAD src0_sel:WORD_1 src1_sel:DWORD
	v_lshrrev_b32_e32 v20, 16, v7
	v_fma_f16 v16, v39, v6, v16
	v_mul_f16_sdwa v6, v39, v6 dst_sel:DWORD dst_unused:UNUSED_PAD src0_sel:WORD_1 src1_sel:DWORD
	v_fma_f16 v6, v39, v18, -v6
	v_mul_f16_sdwa v18, v40, v20 dst_sel:DWORD dst_unused:UNUSED_PAD src0_sel:WORD_1 src1_sel:DWORD
	s_waitcnt lgkmcnt(0)
	v_lshrrev_b32_e32 v22, 16, v10
	v_fma_f16 v18, v40, v7, v18
	v_mul_f16_sdwa v7, v40, v7 dst_sel:DWORD dst_unused:UNUSED_PAD src0_sel:WORD_1 src1_sel:DWORD
	v_fma_f16 v7, v40, v20, -v7
	v_mul_f16_sdwa v20, v41, v22 dst_sel:DWORD dst_unused:UNUSED_PAD src0_sel:WORD_1 src1_sel:DWORD
	v_lshrrev_b32_e32 v24, 16, v11
	v_fma_f16 v20, v41, v10, v20
	v_mul_f16_sdwa v10, v41, v10 dst_sel:DWORD dst_unused:UNUSED_PAD src0_sel:WORD_1 src1_sel:DWORD
	v_fma_f16 v10, v41, v22, -v10
	v_mul_f16_sdwa v22, v42, v24 dst_sel:DWORD dst_unused:UNUSED_PAD src0_sel:WORD_1 src1_sel:DWORD
	v_lshrrev_b32_e32 v15, 16, v1
	v_fma_f16 v22, v42, v11, v22
	v_mul_f16_sdwa v11, v42, v11 dst_sel:DWORD dst_unused:UNUSED_PAD src0_sel:WORD_1 src1_sel:DWORD
	v_fma_f16 v11, v42, v24, -v11
	v_sub_f16_e32 v24, v0, v25
	v_sub_f16_e32 v2, v12, v2
	;; [unrolled: 1-line block ×4, first 2 shown]
	v_lshrrev_b32_e32 v17, 16, v4
	v_lshrrev_b32_e32 v19, 16, v5
	v_fma_f16 v0, v0, 2.0, -v24
	v_fma_f16 v12, v12, 2.0, -v2
	;; [unrolled: 1-line block ×4, first 2 shown]
	v_sub_f16_e32 v16, v4, v16
	v_sub_f16_e32 v6, v17, v6
	;; [unrolled: 1-line block ×4, first 2 shown]
	v_pack_b32_f16 v0, v0, v12
	v_pack_b32_f16 v1, v1, v15
	v_lshrrev_b32_e32 v21, 16, v8
	v_lshrrev_b32_e32 v23, 16, v9
	v_fma_f16 v4, v4, 2.0, -v16
	v_fma_f16 v17, v17, 2.0, -v6
	;; [unrolled: 1-line block ×4, first 2 shown]
	v_pack_b32_f16 v2, v24, v2
	ds_write2_b32 v29, v0, v1 offset1:52
	v_pack_b32_f16 v0, v14, v3
	v_sub_f16_e32 v20, v8, v20
	v_sub_f16_e32 v10, v21, v10
	;; [unrolled: 1-line block ×4, first 2 shown]
	ds_write2_b32 v30, v2, v0 offset0:56 offset1:108
	v_pack_b32_f16 v0, v4, v17
	v_pack_b32_f16 v2, v5, v19
	v_fma_f16 v8, v8, 2.0, -v20
	v_fma_f16 v21, v21, 2.0, -v10
	;; [unrolled: 1-line block ×4, first 2 shown]
	v_pack_b32_f16 v1, v16, v6
	ds_write2_b32 v29, v0, v2 offset0:104 offset1:156
	v_pack_b32_f16 v0, v18, v7
	ds_write2_b32 v30, v1, v0 offset0:160 offset1:212
	v_pack_b32_f16 v0, v8, v21
	v_pack_b32_f16 v2, v9, v23
	;; [unrolled: 1-line block ×3, first 2 shown]
	ds_write2_b32 v44, v0, v2 offset0:80 offset1:132
	v_pack_b32_f16 v0, v22, v11
	ds_write2_b32 v45, v1, v0 offset0:8 offset1:60
	s_waitcnt lgkmcnt(0)
	; wave barrier
	s_waitcnt lgkmcnt(0)
	s_and_b64 exec, exec, vcc
	s_cbranch_execz .LBB0_15
; %bb.14:
	global_load_dword v9, v27, s[6:7]
	global_load_dword v8, v27, s[6:7] offset:192
	ds_read_b32 v16, v29
	v_mad_u64_u32 v[2:3], s[0:1], s10, v13, 0
	v_mad_u64_u32 v[4:5], s[0:1], s8, v26, 0
	v_mov_b32_e32 v6, 0x7c00
	ds_read2_b32 v[0:1], v28 offset0:48 offset1:96
	v_mad_u64_u32 v[17:18], s[0:1], s11, v13, v[3:4]
	s_waitcnt lgkmcnt(1)
	v_lshrrev_b32_e32 v3, 16, v16
	v_mad_u64_u32 v[20:21], s[0:1], s9, v26, v[5:6]
	s_mov_b32 s14, 0x1a41a41a
	global_load_dword v10, v27, s[6:7] offset:384
	global_load_dword v11, v27, s[6:7] offset:576
	;; [unrolled: 1-line block ×6, first 2 shown]
	s_mov_b32 s15, 0x3f5a41a4
	s_movk_i32 s18, 0x1ff
	s_movk_i32 s17, 0xffe
	v_mov_b32_e32 v5, v20
	s_movk_i32 s16, 0x40f
	s_mov_b32 s10, 0x8000
	v_lshlrev_b64 v[4:5], 2, v[4:5]
	s_waitcnt vmcnt(7)
	v_mul_f16_sdwa v13, v3, v9 dst_sel:DWORD dst_unused:UNUSED_PAD src0_sel:DWORD src1_sel:WORD_1
	v_fma_f16 v13, v16, v9, v13
	v_mul_f16_sdwa v16, v16, v9 dst_sel:DWORD dst_unused:UNUSED_PAD src0_sel:DWORD src1_sel:WORD_1
	v_cvt_f32_f16_e32 v13, v13
	v_fma_f16 v3, v9, v3, -v16
	v_cvt_f32_f16_e32 v3, v3
	s_waitcnt lgkmcnt(0)
	v_lshrrev_b32_e32 v9, 16, v0
	v_cvt_f64_f32_e32 v[18:19], v13
	v_cvt_f64_f32_e32 v[21:22], v3
	s_waitcnt vmcnt(6)
	v_mul_f16_sdwa v3, v9, v8 dst_sel:DWORD dst_unused:UNUSED_PAD src0_sel:DWORD src1_sel:WORD_1
	v_mul_f64 v[18:19], v[18:19], s[14:15]
	v_fma_f16 v3, v0, v8, v3
	v_mul_f64 v[21:22], v[21:22], s[14:15]
	v_cvt_f32_f16_e32 v13, v3
	v_mov_b32_e32 v3, v17
	v_lshlrev_b64 v[2:3], 2, v[2:3]
	v_mul_f16_sdwa v0, v0, v8 dst_sel:DWORD dst_unused:UNUSED_PAD src0_sel:DWORD src1_sel:WORD_1
	v_cvt_f64_f32_e32 v[16:17], v13
	v_and_or_b32 v13, v19, s18, v18
	v_cmp_ne_u32_e32 vcc, 0, v13
	v_and_or_b32 v21, v22, s18, v21
	v_lshrrev_b32_e32 v18, 8, v19
	v_bfe_u32 v20, v19, 20, 11
	v_cndmask_b32_e64 v13, 0, 1, vcc
	v_cmp_ne_u32_e32 vcc, 0, v21
	v_lshrrev_b32_e32 v23, 8, v22
	v_bfe_u32 v24, v22, 20, 11
	v_sub_u32_e32 v25, 0x3f1, v20
	v_cndmask_b32_e64 v21, 0, 1, vcc
	v_and_or_b32 v13, v18, s17, v13
	v_sub_u32_e32 v29, 0x3f1, v24
	v_med3_i32 v18, v25, 0, 13
	v_and_or_b32 v21, v23, s17, v21
	v_or_b32_e32 v25, 0x1000, v13
	v_add_u32_e32 v20, 0xfffffc10, v20
	v_med3_i32 v23, v29, 0, 13
	v_cmp_ne_u32_e32 vcc, 0, v13
	v_or_b32_e32 v30, 0x1000, v21
	v_lshrrev_b32_e32 v32, v18, v25
	v_add_u32_e32 v24, 0xfffffc10, v24
	v_lshl_or_b32 v29, v20, 12, v13
	v_cndmask_b32_e64 v13, 0, 1, vcc
	v_cmp_ne_u32_e32 vcc, 0, v21
	v_lshrrev_b32_e32 v33, v23, v30
	v_lshlrev_b32_e32 v18, v18, v32
	v_lshl_or_b32 v31, v24, 12, v21
	v_cndmask_b32_e64 v21, 0, 1, vcc
	v_lshlrev_b32_e32 v23, v23, v33
	v_cmp_ne_u32_e32 vcc, v18, v25
	v_cndmask_b32_e64 v18, 0, 1, vcc
	v_cmp_ne_u32_e32 vcc, v23, v30
	v_cndmask_b32_e64 v23, 0, 1, vcc
	v_or_b32_e32 v18, v32, v18
	v_cmp_gt_i32_e32 vcc, 1, v20
	v_cndmask_b32_e32 v18, v29, v18, vcc
	v_or_b32_e32 v23, v33, v23
	v_cmp_gt_i32_e32 vcc, 1, v24
	v_and_b32_e32 v25, 7, v18
	v_cndmask_b32_e32 v23, v31, v23, vcc
	v_cmp_lt_i32_e32 vcc, 5, v25
	v_cmp_eq_u32_e64 s[0:1], 3, v25
	v_lshrrev_b32_e32 v18, 2, v18
	v_and_b32_e32 v29, 7, v23
	s_or_b64 vcc, s[0:1], vcc
	v_cmp_lt_i32_e64 s[2:3], 5, v29
	v_cmp_eq_u32_e64 s[4:5], 3, v29
	v_addc_co_u32_e32 v18, vcc, 0, v18, vcc
	v_lshrrev_b32_e32 v23, 2, v23
	s_or_b64 vcc, s[4:5], s[2:3]
	v_addc_co_u32_e32 v23, vcc, 0, v23, vcc
	v_cmp_gt_i32_e32 vcc, 31, v20
	v_cndmask_b32_e32 v18, v6, v18, vcc
	v_cmp_gt_i32_e32 vcc, 31, v24
	v_lshl_or_b32 v13, v13, 9, v6
	v_cndmask_b32_e32 v23, v6, v23, vcc
	v_cmp_eq_u32_e32 vcc, s16, v20
	v_mul_f64 v[16:17], v[16:17], s[14:15]
	v_lshrrev_b32_e32 v19, 16, v19
	v_lshl_or_b32 v21, v21, 9, v6
	v_cndmask_b32_e32 v13, v18, v13, vcc
	v_cmp_eq_u32_e32 vcc, s16, v24
	v_lshrrev_b32_e32 v22, 16, v22
	v_cndmask_b32_e32 v18, v23, v21, vcc
	v_and_or_b32 v13, v19, s10, v13
	v_and_or_b32 v18, v22, s10, v18
	v_and_b32_e32 v13, 0xffff, v13
	v_lshl_or_b32 v13, v18, 16, v13
	v_mov_b32_e32 v18, s13
	v_add_co_u32_e32 v2, vcc, s12, v2
	v_addc_co_u32_e32 v3, vcc, v18, v3, vcc
	v_add_co_u32_e32 v4, vcc, v2, v4
	v_addc_co_u32_e32 v5, vcc, v3, v5, vcc
	global_store_dword v[4:5], v13, off
	v_and_or_b32 v13, v17, s18, v16
	v_cmp_ne_u32_e32 vcc, 0, v13
	v_fma_f16 v0, v8, v9, -v0
	v_cndmask_b32_e64 v13, 0, 1, vcc
	v_lshrrev_b32_e32 v16, 8, v17
	v_bfe_u32 v18, v17, 20, 11
	v_cvt_f32_f16_e32 v0, v0
	v_and_or_b32 v13, v16, s17, v13
	v_sub_u32_e32 v19, 0x3f1, v18
	v_or_b32_e32 v16, 0x1000, v13
	v_med3_i32 v19, v19, 0, 13
	v_lshrrev_b32_e32 v20, v19, v16
	v_lshlrev_b32_e32 v19, v19, v20
	v_cvt_f64_f32_e32 v[8:9], v0
	v_cmp_ne_u32_e32 vcc, v19, v16
	v_cndmask_b32_e64 v16, 0, 1, vcc
	v_add_u32_e32 v18, 0xfffffc10, v18
	v_or_b32_e32 v16, v20, v16
	v_lshl_or_b32 v19, v18, 12, v13
	v_cmp_gt_i32_e32 vcc, 1, v18
	v_cndmask_b32_e32 v16, v19, v16, vcc
	v_mul_f64 v[8:9], v[8:9], s[14:15]
	v_and_b32_e32 v19, 7, v16
	v_cmp_lt_i32_e32 vcc, 5, v19
	v_cmp_eq_u32_e64 s[0:1], 3, v19
	v_lshrrev_b32_e32 v16, 2, v16
	s_or_b64 vcc, s[0:1], vcc
	v_addc_co_u32_e32 v0, vcc, 0, v16, vcc
	v_cmp_gt_i32_e32 vcc, 31, v18
	v_cndmask_b32_e32 v0, v6, v0, vcc
	v_cmp_ne_u32_e32 vcc, 0, v13
	v_cndmask_b32_e64 v13, 0, 1, vcc
	v_lshl_or_b32 v13, v13, 9, v6
	v_cmp_eq_u32_e32 vcc, s16, v18
	v_and_or_b32 v8, v9, s18, v8
	v_cndmask_b32_e32 v0, v0, v13, vcc
	v_lshrrev_b32_e32 v13, 16, v17
	v_cmp_ne_u32_e32 vcc, 0, v8
	v_and_or_b32 v0, v13, s10, v0
	v_cndmask_b32_e64 v8, 0, 1, vcc
	v_lshrrev_b32_e32 v13, 8, v9
	v_bfe_u32 v16, v9, 20, 11
	v_and_or_b32 v8, v13, s17, v8
	v_sub_u32_e32 v17, 0x3f1, v16
	v_or_b32_e32 v13, 0x1000, v8
	v_med3_i32 v17, v17, 0, 13
	v_lshrrev_b32_e32 v18, v17, v13
	v_lshlrev_b32_e32 v17, v17, v18
	v_cmp_ne_u32_e32 vcc, v17, v13
	v_cndmask_b32_e64 v13, 0, 1, vcc
	v_add_u32_e32 v16, 0xfffffc10, v16
	v_or_b32_e32 v13, v18, v13
	v_lshl_or_b32 v17, v16, 12, v8
	v_cmp_gt_i32_e32 vcc, 1, v16
	v_cndmask_b32_e32 v13, v17, v13, vcc
	v_and_b32_e32 v17, 7, v13
	v_cmp_lt_i32_e32 vcc, 5, v17
	v_cmp_eq_u32_e64 s[0:1], 3, v17
	v_lshrrev_b32_e32 v13, 2, v13
	s_or_b64 vcc, s[0:1], vcc
	v_addc_co_u32_e32 v13, vcc, 0, v13, vcc
	v_cmp_gt_i32_e32 vcc, 31, v16
	v_cndmask_b32_e32 v13, v6, v13, vcc
	v_cmp_ne_u32_e32 vcc, 0, v8
	v_cndmask_b32_e64 v8, 0, 1, vcc
	v_lshl_or_b32 v8, v8, 9, v6
	v_cmp_eq_u32_e32 vcc, s16, v16
	v_cndmask_b32_e32 v8, v13, v8, vcc
	v_lshrrev_b32_e32 v13, 16, v1
	s_waitcnt vmcnt(6)
	v_mul_f16_sdwa v16, v13, v10 dst_sel:DWORD dst_unused:UNUSED_PAD src0_sel:DWORD src1_sel:WORD_1
	v_fma_f16 v16, v1, v10, v16
	v_cvt_f32_f16_e32 v16, v16
	v_lshrrev_b32_e32 v9, 16, v9
	v_and_or_b32 v8, v9, s10, v8
	v_and_b32_e32 v0, 0xffff, v0
	v_lshl_or_b32 v0, v8, 16, v0
	v_cvt_f64_f32_e32 v[8:9], v16
	s_mul_i32 s0, s9, 0xc0
	s_mul_hi_u32 s2, s8, 0xc0
	s_add_i32 s2, s2, s0
	v_mul_f64 v[8:9], v[8:9], s[14:15]
	s_mul_i32 s3, s8, 0xc0
	v_mov_b32_e32 v16, s2
	v_add_co_u32_e32 v4, vcc, s3, v4
	v_addc_co_u32_e32 v5, vcc, v5, v16, vcc
	global_store_dword v[4:5], v0, off
	v_and_or_b32 v0, v9, s18, v8
	v_cmp_ne_u32_e32 vcc, 0, v0
	v_cndmask_b32_e64 v0, 0, 1, vcc
	v_lshrrev_b32_e32 v8, 8, v9
	v_bfe_u32 v16, v9, 20, 11
	v_and_or_b32 v8, v8, s17, v0
	v_sub_u32_e32 v17, 0x3f1, v16
	v_or_b32_e32 v0, 0x1000, v8
	v_med3_i32 v17, v17, 0, 13
	v_lshrrev_b32_e32 v18, v17, v0
	v_mul_f16_sdwa v1, v1, v10 dst_sel:DWORD dst_unused:UNUSED_PAD src0_sel:DWORD src1_sel:WORD_1
	v_lshlrev_b32_e32 v17, v17, v18
	v_fma_f16 v1, v10, v13, -v1
	v_cmp_ne_u32_e32 vcc, v17, v0
	v_cvt_f32_f16_e32 v1, v1
	v_cndmask_b32_e64 v0, 0, 1, vcc
	v_add_u32_e32 v16, 0xfffffc10, v16
	v_or_b32_e32 v0, v18, v0
	v_lshl_or_b32 v17, v16, 12, v8
	v_cmp_gt_i32_e32 vcc, 1, v16
	v_cndmask_b32_e32 v0, v17, v0, vcc
	v_and_b32_e32 v17, 7, v0
	v_lshrrev_b32_e32 v10, 2, v0
	v_cvt_f64_f32_e32 v[0:1], v1
	v_cmp_lt_i32_e32 vcc, 5, v17
	v_cmp_eq_u32_e64 s[0:1], 3, v17
	s_or_b64 vcc, s[0:1], vcc
	v_mul_f64 v[0:1], v[0:1], s[14:15]
	v_addc_co_u32_e32 v10, vcc, 0, v10, vcc
	v_cmp_gt_i32_e32 vcc, 31, v16
	v_cndmask_b32_e32 v10, v6, v10, vcc
	v_cmp_ne_u32_e32 vcc, 0, v8
	v_cndmask_b32_e64 v8, 0, 1, vcc
	v_lshl_or_b32 v8, v8, 9, v6
	v_cmp_eq_u32_e32 vcc, s16, v16
	v_and_or_b32 v0, v1, s18, v0
	v_cndmask_b32_e32 v8, v10, v8, vcc
	v_lshrrev_b32_e32 v9, 16, v9
	v_cmp_ne_u32_e32 vcc, 0, v0
	v_and_or_b32 v10, v9, s10, v8
	v_cndmask_b32_e64 v0, 0, 1, vcc
	v_lshrrev_b32_e32 v8, 8, v1
	v_bfe_u32 v9, v1, 20, 11
	v_and_or_b32 v0, v8, s17, v0
	v_sub_u32_e32 v13, 0x3f1, v9
	v_or_b32_e32 v8, 0x1000, v0
	v_med3_i32 v13, v13, 0, 13
	v_lshrrev_b32_e32 v16, v13, v8
	v_lshlrev_b32_e32 v13, v13, v16
	v_cmp_ne_u32_e32 vcc, v13, v8
	v_cndmask_b32_e64 v8, 0, 1, vcc
	v_add_u32_e32 v13, 0xfffffc10, v9
	v_or_b32_e32 v8, v16, v8
	v_lshl_or_b32 v9, v13, 12, v0
	v_cmp_gt_i32_e32 vcc, 1, v13
	v_cndmask_b32_e32 v8, v9, v8, vcc
	v_and_b32_e32 v9, 7, v8
	v_cmp_lt_i32_e32 vcc, 5, v9
	v_cmp_eq_u32_e64 s[0:1], 3, v9
	v_lshrrev_b32_e32 v8, 2, v8
	s_or_b64 vcc, s[0:1], vcc
	v_addc_co_u32_e32 v16, vcc, 0, v8, vcc
	ds_read2_b32 v[8:9], v28 offset0:144 offset1:192
	v_cmp_gt_i32_e32 vcc, 31, v13
	v_cndmask_b32_e32 v16, v6, v16, vcc
	v_cmp_ne_u32_e32 vcc, 0, v0
	v_cndmask_b32_e64 v0, 0, 1, vcc
	s_waitcnt lgkmcnt(0)
	v_lshrrev_b32_e32 v18, 16, v8
	s_waitcnt vmcnt(6)
	v_mul_f16_sdwa v17, v18, v11 dst_sel:DWORD dst_unused:UNUSED_PAD src0_sel:DWORD src1_sel:WORD_1
	v_fma_f16 v17, v8, v11, v17
	v_cvt_f32_f16_e32 v17, v17
	v_lshl_or_b32 v0, v0, 9, v6
	v_cmp_eq_u32_e32 vcc, s16, v13
	v_cndmask_b32_e32 v0, v16, v0, vcc
	v_cvt_f64_f32_e32 v[16:17], v17
	v_lshrrev_b32_e32 v1, 16, v1
	v_and_or_b32 v13, v1, s10, v0
	v_and_b32_e32 v10, 0xffff, v10
	v_mul_f64 v[0:1], v[16:17], s[14:15]
	v_lshl_or_b32 v10, v13, 16, v10
	v_mov_b32_e32 v13, s2
	v_add_co_u32_e32 v4, vcc, s3, v4
	v_addc_co_u32_e32 v5, vcc, v5, v13, vcc
	global_store_dword v[4:5], v10, off
	v_and_or_b32 v0, v1, s18, v0
	v_cmp_ne_u32_e32 vcc, 0, v0
	v_cndmask_b32_e64 v0, 0, 1, vcc
	v_lshrrev_b32_e32 v10, 8, v1
	v_bfe_u32 v13, v1, 20, 11
	v_and_or_b32 v0, v10, s17, v0
	v_sub_u32_e32 v16, 0x3f1, v13
	v_or_b32_e32 v10, 0x1000, v0
	v_med3_i32 v16, v16, 0, 13
	v_lshrrev_b32_e32 v17, v16, v10
	v_lshlrev_b32_e32 v16, v16, v17
	v_mul_f16_sdwa v8, v8, v11 dst_sel:DWORD dst_unused:UNUSED_PAD src0_sel:DWORD src1_sel:WORD_1
	v_cmp_ne_u32_e32 vcc, v16, v10
	v_fma_f16 v8, v11, v18, -v8
	v_cndmask_b32_e64 v10, 0, 1, vcc
	v_add_u32_e32 v13, 0xfffffc10, v13
	v_cvt_f32_f16_e32 v8, v8
	v_or_b32_e32 v10, v17, v10
	v_lshl_or_b32 v16, v13, 12, v0
	v_cmp_gt_i32_e32 vcc, 1, v13
	v_cndmask_b32_e32 v10, v16, v10, vcc
	v_and_b32_e32 v16, 7, v10
	v_cmp_lt_i32_e32 vcc, 5, v16
	v_cmp_eq_u32_e64 s[0:1], 3, v16
	v_lshrrev_b32_e32 v16, 2, v10
	v_cvt_f64_f32_e32 v[10:11], v8
	s_or_b64 vcc, s[0:1], vcc
	v_addc_co_u32_e32 v8, vcc, 0, v16, vcc
	v_mul_f64 v[10:11], v[10:11], s[14:15]
	v_cmp_gt_i32_e32 vcc, 31, v13
	v_cndmask_b32_e32 v8, v6, v8, vcc
	v_cmp_ne_u32_e32 vcc, 0, v0
	v_cndmask_b32_e64 v0, 0, 1, vcc
	v_lshl_or_b32 v0, v0, 9, v6
	v_cmp_eq_u32_e32 vcc, s16, v13
	v_cndmask_b32_e32 v0, v8, v0, vcc
	v_lshrrev_b32_e32 v1, 16, v1
	v_and_or_b32 v8, v1, s10, v0
	v_and_or_b32 v0, v11, s18, v10
	v_cmp_ne_u32_e32 vcc, 0, v0
	v_cndmask_b32_e64 v0, 0, 1, vcc
	v_lshrrev_b32_e32 v1, 8, v11
	v_bfe_u32 v10, v11, 20, 11
	v_and_or_b32 v0, v1, s17, v0
	v_sub_u32_e32 v13, 0x3f1, v10
	v_or_b32_e32 v1, 0x1000, v0
	v_med3_i32 v13, v13, 0, 13
	v_lshrrev_b32_e32 v16, v13, v1
	v_lshlrev_b32_e32 v13, v13, v16
	v_cmp_ne_u32_e32 vcc, v13, v1
	v_cndmask_b32_e64 v1, 0, 1, vcc
	v_add_u32_e32 v10, 0xfffffc10, v10
	v_or_b32_e32 v1, v16, v1
	v_lshl_or_b32 v13, v10, 12, v0
	v_cmp_gt_i32_e32 vcc, 1, v10
	v_cndmask_b32_e32 v1, v13, v1, vcc
	v_and_b32_e32 v13, 7, v1
	v_cmp_lt_i32_e32 vcc, 5, v13
	v_cmp_eq_u32_e64 s[0:1], 3, v13
	v_lshrrev_b32_e32 v13, 16, v9
	v_lshrrev_b32_e32 v1, 2, v1
	s_or_b64 vcc, s[0:1], vcc
	s_waitcnt vmcnt(6)
	v_mul_f16_sdwa v16, v13, v12 dst_sel:DWORD dst_unused:UNUSED_PAD src0_sel:DWORD src1_sel:WORD_1
	v_addc_co_u32_e32 v1, vcc, 0, v1, vcc
	v_fma_f16 v16, v9, v12, v16
	v_cmp_gt_i32_e32 vcc, 31, v10
	v_cvt_f32_f16_e32 v16, v16
	v_cndmask_b32_e32 v1, v6, v1, vcc
	v_cmp_ne_u32_e32 vcc, 0, v0
	v_cndmask_b32_e64 v0, 0, 1, vcc
	v_lshl_or_b32 v0, v0, 9, v6
	v_cmp_eq_u32_e32 vcc, s16, v10
	v_cndmask_b32_e32 v10, v1, v0, vcc
	v_cvt_f64_f32_e32 v[0:1], v16
	v_lshrrev_b32_e32 v11, 16, v11
	v_and_or_b32 v10, v11, s10, v10
	v_and_b32_e32 v8, 0xffff, v8
	v_mul_f64 v[0:1], v[0:1], s[14:15]
	v_lshl_or_b32 v8, v10, 16, v8
	v_mov_b32_e32 v11, s2
	v_add_co_u32_e32 v10, vcc, s3, v4
	v_addc_co_u32_e32 v11, vcc, v5, v11, vcc
	global_store_dword v[10:11], v8, off
	v_and_or_b32 v0, v1, s18, v0
	v_cmp_ne_u32_e32 vcc, 0, v0
	v_cndmask_b32_e64 v0, 0, 1, vcc
	v_lshrrev_b32_e32 v4, 8, v1
	v_bfe_u32 v5, v1, 20, 11
	v_and_or_b32 v0, v4, s17, v0
	v_sub_u32_e32 v8, 0x3f1, v5
	v_or_b32_e32 v4, 0x1000, v0
	v_med3_i32 v8, v8, 0, 13
	v_lshrrev_b32_e32 v17, v8, v4
	v_lshlrev_b32_e32 v8, v8, v17
	v_mul_f16_sdwa v9, v9, v12 dst_sel:DWORD dst_unused:UNUSED_PAD src0_sel:DWORD src1_sel:WORD_1
	v_cmp_ne_u32_e32 vcc, v8, v4
	v_fma_f16 v9, v12, v13, -v9
	v_cndmask_b32_e64 v4, 0, 1, vcc
	v_add_u32_e32 v8, 0xfffffc10, v5
	v_cvt_f32_f16_e32 v9, v9
	v_or_b32_e32 v4, v17, v4
	v_lshl_or_b32 v5, v8, 12, v0
	v_cmp_gt_i32_e32 vcc, 1, v8
	v_cndmask_b32_e32 v4, v5, v4, vcc
	v_and_b32_e32 v5, 7, v4
	v_cmp_lt_i32_e32 vcc, 5, v5
	v_cmp_eq_u32_e64 s[0:1], 3, v5
	v_lshrrev_b32_e32 v12, 2, v4
	v_cvt_f64_f32_e32 v[4:5], v9
	s_or_b64 vcc, s[0:1], vcc
	v_addc_co_u32_e32 v9, vcc, 0, v12, vcc
	v_mul_f64 v[4:5], v[4:5], s[14:15]
	v_cmp_gt_i32_e32 vcc, 31, v8
	v_cndmask_b32_e32 v9, v6, v9, vcc
	v_cmp_ne_u32_e32 vcc, 0, v0
	v_cndmask_b32_e64 v0, 0, 1, vcc
	v_lshl_or_b32 v0, v0, 9, v6
	v_cmp_eq_u32_e32 vcc, s16, v8
	v_cndmask_b32_e32 v0, v9, v0, vcc
	v_lshrrev_b32_e32 v1, 16, v1
	v_and_or_b32 v17, v1, s10, v0
	v_and_or_b32 v0, v5, s18, v4
	v_cmp_ne_u32_e32 vcc, 0, v0
	v_cndmask_b32_e64 v0, 0, 1, vcc
	v_lshrrev_b32_e32 v1, 8, v5
	v_bfe_u32 v4, v5, 20, 11
	v_and_or_b32 v0, v1, s17, v0
	v_sub_u32_e32 v8, 0x3f1, v4
	v_or_b32_e32 v1, 0x1000, v0
	v_med3_i32 v8, v8, 0, 13
	v_lshrrev_b32_e32 v9, v8, v1
	v_lshlrev_b32_e32 v8, v8, v9
	v_cmp_ne_u32_e32 vcc, v8, v1
	v_cndmask_b32_e64 v1, 0, 1, vcc
	v_add_u32_e32 v4, 0xfffffc10, v4
	v_or_b32_e32 v1, v9, v1
	v_lshl_or_b32 v8, v4, 12, v0
	v_cmp_gt_i32_e32 vcc, 1, v4
	v_cndmask_b32_e32 v1, v8, v1, vcc
	v_and_b32_e32 v8, 7, v1
	v_cmp_lt_i32_e32 vcc, 5, v8
	v_cmp_eq_u32_e64 s[0:1], 3, v8
	v_add_u32_e32 v8, 0x200, v28
	ds_read2_b32 v[8:9], v8 offset0:112 offset1:160
	v_lshrrev_b32_e32 v1, 2, v1
	s_or_b64 vcc, s[0:1], vcc
	v_addc_co_u32_e32 v1, vcc, 0, v1, vcc
	v_cmp_gt_i32_e32 vcc, 31, v4
	v_cndmask_b32_e32 v12, v6, v1, vcc
	v_cmp_ne_u32_e32 vcc, 0, v0
	s_waitcnt lgkmcnt(0)
	v_lshrrev_b32_e32 v19, 16, v8
	v_cndmask_b32_e64 v13, 0, 1, vcc
	v_cmp_eq_u32_e32 vcc, s16, v4
	s_waitcnt vmcnt(6)
	v_mul_f16_sdwa v4, v19, v14 dst_sel:DWORD dst_unused:UNUSED_PAD src0_sel:DWORD src1_sel:WORD_1
	v_or_b32_e32 v16, 0xc0, v26
	v_fma_f16 v4, v8, v14, v4
	v_mad_u64_u32 v[0:1], s[0:1], s8, v16, 0
	v_cvt_f32_f16_e32 v4, v4
	v_lshl_or_b32 v13, v13, 9, v6
	v_cndmask_b32_e32 v18, v12, v13, vcc
	v_mad_u64_u32 v[12:13], s[0:1], s9, v16, v[1:2]
	v_lshrrev_b32_e32 v1, 16, v5
	v_cvt_f64_f32_e32 v[4:5], v4
	v_and_or_b32 v13, v1, s10, v18
	v_mov_b32_e32 v1, v12
	v_lshlrev_b64 v[0:1], 2, v[0:1]
	v_mul_f64 v[4:5], v[4:5], s[14:15]
	v_and_b32_e32 v12, 0xffff, v17
	v_add_co_u32_e32 v0, vcc, v2, v0
	v_lshl_or_b32 v12, v13, 16, v12
	v_addc_co_u32_e32 v1, vcc, v3, v1, vcc
	global_store_dword v[0:1], v12, off
	v_and_or_b32 v0, v5, s18, v4
	v_cmp_ne_u32_e32 vcc, 0, v0
	v_cndmask_b32_e64 v0, 0, 1, vcc
	v_lshrrev_b32_e32 v1, 8, v5
	v_and_or_b32 v4, v1, s17, v0
	v_bfe_u32 v1, v5, 20, 11
	v_sub_u32_e32 v12, 0x3f1, v1
	v_or_b32_e32 v0, 0x1000, v4
	v_med3_i32 v12, v12, 0, 13
	v_lshrrev_b32_e32 v13, v12, v0
	v_lshlrev_b32_e32 v12, v12, v13
	v_mul_f16_sdwa v8, v8, v14 dst_sel:DWORD dst_unused:UNUSED_PAD src0_sel:DWORD src1_sel:WORD_1
	v_cmp_ne_u32_e32 vcc, v12, v0
	v_fma_f16 v8, v14, v19, -v8
	v_cndmask_b32_e64 v0, 0, 1, vcc
	v_add_u32_e32 v12, 0xfffffc10, v1
	v_cvt_f32_f16_e32 v8, v8
	v_or_b32_e32 v0, v13, v0
	v_lshl_or_b32 v1, v12, 12, v4
	v_cmp_gt_i32_e32 vcc, 1, v12
	v_cndmask_b32_e32 v0, v1, v0, vcc
	v_and_b32_e32 v1, 7, v0
	v_cmp_lt_i32_e32 vcc, 5, v1
	v_cmp_eq_u32_e64 s[0:1], 3, v1
	v_lshrrev_b32_e32 v13, 2, v0
	v_cvt_f64_f32_e32 v[0:1], v8
	s_or_b64 vcc, s[0:1], vcc
	v_addc_co_u32_e32 v8, vcc, 0, v13, vcc
	v_mul_f64 v[0:1], v[0:1], s[14:15]
	v_cmp_gt_i32_e32 vcc, 31, v12
	v_cndmask_b32_e32 v8, v6, v8, vcc
	v_cmp_ne_u32_e32 vcc, 0, v4
	v_cndmask_b32_e64 v4, 0, 1, vcc
	v_lshl_or_b32 v4, v4, 9, v6
	v_cmp_eq_u32_e32 vcc, s16, v12
	v_cndmask_b32_e32 v4, v8, v4, vcc
	v_and_or_b32 v0, v1, s18, v0
	v_lshrrev_b32_e32 v5, 16, v5
	v_cmp_ne_u32_e32 vcc, 0, v0
	v_and_or_b32 v5, v5, s10, v4
	v_cndmask_b32_e64 v0, 0, 1, vcc
	v_lshrrev_b32_e32 v4, 8, v1
	v_bfe_u32 v8, v1, 20, 11
	v_and_or_b32 v0, v4, s17, v0
	v_sub_u32_e32 v12, 0x3f1, v8
	v_or_b32_e32 v4, 0x1000, v0
	v_med3_i32 v12, v12, 0, 13
	v_lshrrev_b32_e32 v13, v12, v4
	v_lshlrev_b32_e32 v12, v12, v13
	v_cmp_ne_u32_e32 vcc, v12, v4
	v_cndmask_b32_e64 v4, 0, 1, vcc
	v_add_u32_e32 v8, 0xfffffc10, v8
	v_or_b32_e32 v4, v13, v4
	v_lshl_or_b32 v12, v8, 12, v0
	v_cmp_gt_i32_e32 vcc, 1, v8
	v_cndmask_b32_e32 v4, v12, v4, vcc
	v_and_b32_e32 v12, 7, v4
	v_lshrrev_b32_e32 v14, 16, v9
	v_cmp_lt_i32_e32 vcc, 5, v12
	v_cmp_eq_u32_e64 s[0:1], 3, v12
	s_waitcnt vmcnt(6)
	v_mul_f16_sdwa v12, v14, v15 dst_sel:DWORD dst_unused:UNUSED_PAD src0_sel:DWORD src1_sel:WORD_1
	v_fma_f16 v12, v9, v15, v12
	v_cvt_f32_f16_e32 v12, v12
	v_lshrrev_b32_e32 v4, 2, v4
	s_or_b64 vcc, s[0:1], vcc
	v_addc_co_u32_e32 v4, vcc, 0, v4, vcc
	v_cmp_gt_i32_e32 vcc, 31, v8
	v_cndmask_b32_e32 v4, v6, v4, vcc
	v_cmp_ne_u32_e32 vcc, 0, v0
	v_cvt_f64_f32_e32 v[12:13], v12
	v_cndmask_b32_e64 v0, 0, 1, vcc
	v_lshl_or_b32 v0, v0, 9, v6
	v_cmp_eq_u32_e32 vcc, s16, v8
	v_cndmask_b32_e32 v0, v4, v0, vcc
	v_lshrrev_b32_e32 v1, 16, v1
	v_and_or_b32 v8, v1, s10, v0
	v_mul_f64 v[0:1], v[12:13], s[14:15]
	v_mov_b32_e32 v4, 0x180
	v_mad_u64_u32 v[10:11], s[0:1], s8, v4, v[10:11]
	v_and_b32_e32 v5, 0xffff, v5
	s_mul_i32 s4, s9, 0x180
	v_lshl_or_b32 v5, v8, 16, v5
	v_add_u32_e32 v11, s4, v11
	v_and_or_b32 v0, v1, s18, v0
	v_cmp_ne_u32_e32 vcc, 0, v0
	global_store_dword v[10:11], v5, off
	v_cndmask_b32_e64 v0, 0, 1, vcc
	v_lshrrev_b32_e32 v5, 8, v1
	v_bfe_u32 v8, v1, 20, 11
	v_and_or_b32 v0, v5, s17, v0
	v_sub_u32_e32 v12, 0x3f1, v8
	v_or_b32_e32 v5, 0x1000, v0
	v_med3_i32 v12, v12, 0, 13
	v_lshrrev_b32_e32 v13, v12, v5
	v_lshlrev_b32_e32 v12, v12, v13
	v_mul_f16_sdwa v9, v9, v15 dst_sel:DWORD dst_unused:UNUSED_PAD src0_sel:DWORD src1_sel:WORD_1
	v_cmp_ne_u32_e32 vcc, v12, v5
	v_fma_f16 v9, v15, v14, -v9
	v_cndmask_b32_e64 v5, 0, 1, vcc
	v_add_u32_e32 v12, 0xfffffc10, v8
	v_cvt_f32_f16_e32 v9, v9
	v_or_b32_e32 v5, v13, v5
	v_lshl_or_b32 v8, v12, 12, v0
	v_cmp_gt_i32_e32 vcc, 1, v12
	v_cndmask_b32_e32 v5, v8, v5, vcc
	v_and_b32_e32 v8, 7, v5
	v_cmp_lt_i32_e32 vcc, 5, v8
	v_cmp_eq_u32_e64 s[0:1], 3, v8
	v_cvt_f64_f32_e32 v[8:9], v9
	v_lshrrev_b32_e32 v5, 2, v5
	s_or_b64 vcc, s[0:1], vcc
	v_addc_co_u32_e32 v5, vcc, 0, v5, vcc
	v_mul_f64 v[8:9], v[8:9], s[14:15]
	v_cmp_gt_i32_e32 vcc, 31, v12
	v_cndmask_b32_e32 v5, v6, v5, vcc
	v_cmp_ne_u32_e32 vcc, 0, v0
	v_cndmask_b32_e64 v0, 0, 1, vcc
	v_lshl_or_b32 v0, v0, 9, v6
	v_cmp_eq_u32_e32 vcc, s16, v12
	v_cndmask_b32_e32 v0, v5, v0, vcc
	v_lshrrev_b32_e32 v1, 16, v1
	v_and_or_b32 v12, v1, s10, v0
	v_and_or_b32 v0, v9, s18, v8
	v_cmp_ne_u32_e32 vcc, 0, v0
	v_cndmask_b32_e64 v0, 0, 1, vcc
	v_lshrrev_b32_e32 v1, 8, v9
	v_and_or_b32 v8, v1, s17, v0
	v_bfe_u32 v1, v9, 20, 11
	v_sub_u32_e32 v5, 0x3f1, v1
	v_or_b32_e32 v0, 0x1000, v8
	v_med3_i32 v5, v5, 0, 13
	v_lshrrev_b32_e32 v13, v5, v0
	v_lshlrev_b32_e32 v5, v5, v13
	v_cmp_ne_u32_e32 vcc, v5, v0
	v_cndmask_b32_e64 v0, 0, 1, vcc
	v_or_b32_e32 v0, v13, v0
	v_add_u32_e32 v13, 0xfffffc10, v1
	v_lshl_or_b32 v1, v13, 12, v8
	v_cmp_gt_i32_e32 vcc, 1, v13
	v_cndmask_b32_e32 v0, v1, v0, vcc
	v_and_b32_e32 v1, 7, v0
	v_cmp_lt_i32_e32 vcc, 5, v1
	v_cmp_eq_u32_e64 s[0:1], 3, v1
	v_lshrrev_b32_e32 v0, 2, v0
	s_or_b64 vcc, s[0:1], vcc
	v_addc_co_u32_e32 v14, vcc, 0, v0, vcc
	v_cmp_gt_i32_e32 vcc, 31, v13
	v_cndmask_b32_e32 v14, v6, v14, vcc
	v_cmp_ne_u32_e32 vcc, 0, v8
	v_cndmask_b32_e64 v8, 0, 1, vcc
	v_lshl_or_b32 v8, v8, 9, v6
	v_cmp_eq_u32_e32 vcc, s16, v13
	v_cndmask_b32_e32 v13, v14, v8, vcc
	v_lshrrev_b32_e32 v14, 16, v9
	v_and_or_b32 v13, v14, s10, v13
	global_load_dword v14, v27, s[6:7] offset:1536
	v_add_u32_e32 v5, 0x400, v28
	ds_read2_b32 v[0:1], v5 offset0:80 offset1:128
	v_and_b32_e32 v12, 0xffff, v12
	v_lshl_or_b32 v12, v13, 16, v12
	v_mov_b32_e32 v13, s2
	v_add_co_u32_e32 v10, vcc, s3, v10
	s_waitcnt lgkmcnt(0)
	v_lshrrev_b32_e32 v15, 16, v0
	s_waitcnt vmcnt(7)
	v_mul_f16_sdwa v16, v15, v7 dst_sel:DWORD dst_unused:UNUSED_PAD src0_sel:DWORD src1_sel:WORD_1
	v_fma_f16 v16, v0, v7, v16
	v_cvt_f32_f16_e32 v16, v16
	v_addc_co_u32_e32 v11, vcc, v11, v13, vcc
	global_store_dword v[10:11], v12, off
	v_cvt_f64_f32_e32 v[8:9], v16
	v_mul_f16_sdwa v0, v0, v7 dst_sel:DWORD dst_unused:UNUSED_PAD src0_sel:DWORD src1_sel:WORD_1
	v_fma_f16 v0, v7, v15, -v0
	v_cvt_f32_f16_e32 v0, v0
	v_mul_f64 v[8:9], v[8:9], s[14:15]
	v_and_or_b32 v8, v9, s18, v8
	v_cmp_ne_u32_e32 vcc, 0, v8
	v_cndmask_b32_e64 v8, 0, 1, vcc
	v_lshrrev_b32_e32 v12, 8, v9
	v_bfe_u32 v13, v9, 20, 11
	v_and_or_b32 v12, v12, s17, v8
	v_sub_u32_e32 v16, 0x3f1, v13
	v_or_b32_e32 v8, 0x1000, v12
	v_med3_i32 v16, v16, 0, 13
	v_lshrrev_b32_e32 v17, v16, v8
	v_lshlrev_b32_e32 v16, v16, v17
	v_cmp_ne_u32_e32 vcc, v16, v8
	v_cndmask_b32_e64 v8, 0, 1, vcc
	v_add_u32_e32 v13, 0xfffffc10, v13
	v_or_b32_e32 v8, v17, v8
	v_lshl_or_b32 v16, v13, 12, v12
	v_cmp_gt_i32_e32 vcc, 1, v13
	v_cndmask_b32_e32 v8, v16, v8, vcc
	v_and_b32_e32 v16, 7, v8
	v_lshrrev_b32_e32 v15, 2, v8
	v_cvt_f64_f32_e32 v[7:8], v0
	v_cmp_lt_i32_e32 vcc, 5, v16
	v_cmp_eq_u32_e64 s[0:1], 3, v16
	s_or_b64 vcc, s[0:1], vcc
	v_mul_f64 v[7:8], v[7:8], s[14:15]
	v_addc_co_u32_e32 v0, vcc, 0, v15, vcc
	v_cmp_gt_i32_e32 vcc, 31, v13
	v_cndmask_b32_e32 v0, v6, v0, vcc
	v_cmp_ne_u32_e32 vcc, 0, v12
	v_cndmask_b32_e64 v12, 0, 1, vcc
	v_lshl_or_b32 v12, v12, 9, v6
	v_cmp_eq_u32_e32 vcc, s16, v13
	v_and_or_b32 v7, v8, s18, v7
	v_cndmask_b32_e32 v0, v0, v12, vcc
	v_lshrrev_b32_e32 v9, 16, v9
	v_cmp_ne_u32_e32 vcc, 0, v7
	v_and_or_b32 v0, v9, s10, v0
	v_cndmask_b32_e64 v7, 0, 1, vcc
	v_lshrrev_b32_e32 v9, 8, v8
	v_bfe_u32 v12, v8, 20, 11
	v_and_or_b32 v7, v9, s17, v7
	v_sub_u32_e32 v13, 0x3f1, v12
	v_or_b32_e32 v9, 0x1000, v7
	v_med3_i32 v13, v13, 0, 13
	v_lshrrev_b32_e32 v15, v13, v9
	v_lshlrev_b32_e32 v13, v13, v15
	v_cmp_ne_u32_e32 vcc, v13, v9
	v_cndmask_b32_e64 v9, 0, 1, vcc
	v_or_b32_e32 v9, v15, v9
	global_load_dword v15, v27, s[6:7] offset:1728
	global_load_dword v16, v27, s[6:7] offset:1920
	;; [unrolled: 1-line block ×4, first 2 shown]
	v_add_u32_e32 v12, 0xfffffc10, v12
	v_lshl_or_b32 v13, v12, 12, v7
	v_cmp_gt_i32_e32 vcc, 1, v12
	v_cndmask_b32_e32 v9, v13, v9, vcc
	v_and_b32_e32 v13, 7, v9
	v_cmp_lt_i32_e32 vcc, 5, v13
	v_cmp_eq_u32_e64 s[0:1], 3, v13
	v_lshrrev_b32_e32 v13, 16, v1
	v_lshrrev_b32_e32 v9, 2, v9
	s_or_b64 vcc, s[0:1], vcc
	s_waitcnt vmcnt(5)
	v_mul_f16_sdwa v19, v13, v14 dst_sel:DWORD dst_unused:UNUSED_PAD src0_sel:DWORD src1_sel:WORD_1
	v_addc_co_u32_e32 v9, vcc, 0, v9, vcc
	v_fma_f16 v19, v1, v14, v19
	v_cmp_gt_i32_e32 vcc, 31, v12
	v_cvt_f32_f16_e32 v19, v19
	v_cndmask_b32_e32 v9, v6, v9, vcc
	v_cmp_ne_u32_e32 vcc, 0, v7
	v_cndmask_b32_e64 v7, 0, 1, vcc
	v_lshl_or_b32 v7, v7, 9, v6
	v_cmp_eq_u32_e32 vcc, s16, v12
	v_cndmask_b32_e32 v9, v9, v7, vcc
	v_lshrrev_b32_e32 v12, 16, v8
	v_cvt_f64_f32_e32 v[7:8], v19
	v_and_or_b32 v9, v12, s10, v9
	v_and_b32_e32 v0, 0xffff, v0
	v_lshl_or_b32 v0, v9, 16, v0
	v_mul_f64 v[7:8], v[7:8], s[14:15]
	v_mov_b32_e32 v12, s2
	v_add_co_u32_e32 v9, vcc, s3, v10
	v_addc_co_u32_e32 v10, vcc, v11, v12, vcc
	global_store_dword v[9:10], v0, off
	v_mul_f16_sdwa v1, v1, v14 dst_sel:DWORD dst_unused:UNUSED_PAD src0_sel:DWORD src1_sel:WORD_1
	v_and_or_b32 v0, v8, s18, v7
	v_cmp_ne_u32_e32 vcc, 0, v0
	v_cndmask_b32_e64 v0, 0, 1, vcc
	v_lshrrev_b32_e32 v7, 8, v8
	v_bfe_u32 v11, v8, 20, 11
	v_and_or_b32 v7, v7, s17, v0
	v_sub_u32_e32 v12, 0x3f1, v11
	v_or_b32_e32 v0, 0x1000, v7
	v_med3_i32 v12, v12, 0, 13
	v_lshrrev_b32_e32 v20, v12, v0
	v_lshlrev_b32_e32 v12, v12, v20
	v_cmp_ne_u32_e32 vcc, v12, v0
	v_fma_f16 v1, v14, v13, -v1
	v_cndmask_b32_e64 v0, 0, 1, vcc
	v_add_u32_e32 v11, 0xfffffc10, v11
	v_cvt_f32_f16_e32 v1, v1
	v_or_b32_e32 v0, v20, v0
	v_lshl_or_b32 v12, v11, 12, v7
	v_cmp_gt_i32_e32 vcc, 1, v11
	v_cndmask_b32_e32 v0, v12, v0, vcc
	v_and_b32_e32 v12, 7, v0
	v_cmp_lt_i32_e32 vcc, 5, v12
	v_cmp_eq_u32_e64 s[0:1], 3, v12
	v_lshrrev_b32_e32 v12, 2, v0
	v_cvt_f64_f32_e32 v[0:1], v1
	s_or_b64 vcc, s[0:1], vcc
	v_addc_co_u32_e32 v12, vcc, 0, v12, vcc
	v_mul_f64 v[0:1], v[0:1], s[14:15]
	v_cmp_gt_i32_e32 vcc, 31, v11
	v_cndmask_b32_e32 v12, v6, v12, vcc
	v_cmp_ne_u32_e32 vcc, 0, v7
	v_cndmask_b32_e64 v7, 0, 1, vcc
	v_lshl_or_b32 v7, v7, 9, v6
	v_cmp_eq_u32_e32 vcc, s16, v11
	v_cndmask_b32_e32 v7, v12, v7, vcc
	v_and_or_b32 v0, v1, s18, v0
	v_lshrrev_b32_e32 v8, 16, v8
	v_cmp_ne_u32_e32 vcc, 0, v0
	v_and_or_b32 v20, v8, s10, v7
	v_cndmask_b32_e64 v0, 0, 1, vcc
	v_lshrrev_b32_e32 v7, 8, v1
	v_bfe_u32 v8, v1, 20, 11
	v_and_or_b32 v0, v7, s17, v0
	v_sub_u32_e32 v11, 0x3f1, v8
	v_or_b32_e32 v7, 0x1000, v0
	v_med3_i32 v11, v11, 0, 13
	v_lshrrev_b32_e32 v12, v11, v7
	v_lshlrev_b32_e32 v11, v11, v12
	v_cmp_ne_u32_e32 vcc, v11, v7
	v_cndmask_b32_e64 v7, 0, 1, vcc
	v_add_u32_e32 v13, 0xfffffc10, v8
	v_or_b32_e32 v7, v12, v7
	v_lshl_or_b32 v8, v13, 12, v0
	v_cmp_gt_i32_e32 vcc, 1, v13
	v_cndmask_b32_e32 v7, v8, v7, vcc
	v_and_b32_e32 v8, 7, v7
	v_cmp_lt_i32_e32 vcc, 5, v8
	v_cmp_eq_u32_e64 s[0:1], 3, v8
	v_lshrrev_b32_e32 v7, 2, v7
	s_or_b64 vcc, s[0:1], vcc
	v_addc_co_u32_e32 v7, vcc, 0, v7, vcc
	ds_read2_b32 v[11:12], v5 offset0:176 offset1:224
	v_or_b32_e32 v19, 0x180, v26
	v_cmp_gt_i32_e32 vcc, 31, v13
	v_cndmask_b32_e32 v14, v6, v7, vcc
	v_mad_u64_u32 v[7:8], s[0:1], s8, v19, 0
	v_cmp_ne_u32_e32 vcc, 0, v0
	v_cndmask_b32_e64 v0, 0, 1, vcc
	v_lshl_or_b32 v0, v0, 9, v6
	v_cmp_eq_u32_e32 vcc, s16, v13
	s_waitcnt lgkmcnt(0)
	v_lshrrev_b32_e32 v21, 16, v11
	v_cndmask_b32_e32 v5, v14, v0, vcc
	v_mov_b32_e32 v0, v8
	s_waitcnt vmcnt(4)
	v_mul_f16_sdwa v8, v21, v15 dst_sel:DWORD dst_unused:UNUSED_PAD src0_sel:DWORD src1_sel:WORD_1
	v_fma_f16 v8, v11, v15, v8
	v_cvt_f32_f16_e32 v8, v8
	v_mad_u64_u32 v[13:14], s[0:1], s9, v19, v[0:1]
	v_lshrrev_b32_e32 v14, 16, v1
	v_cvt_f64_f32_e32 v[0:1], v8
	v_mov_b32_e32 v8, v13
	v_lshlrev_b64 v[7:8], 2, v[7:8]
	v_and_or_b32 v5, v14, s10, v5
	v_mul_f64 v[0:1], v[0:1], s[14:15]
	v_add_co_u32_e32 v7, vcc, v2, v7
	v_and_b32_e32 v13, 0xffff, v20
	v_addc_co_u32_e32 v8, vcc, v3, v8, vcc
	v_lshl_or_b32 v5, v5, 16, v13
	global_store_dword v[7:8], v5, off
	v_and_or_b32 v0, v1, s18, v0
	v_cmp_ne_u32_e32 vcc, 0, v0
	v_cndmask_b32_e64 v0, 0, 1, vcc
	v_lshrrev_b32_e32 v5, 8, v1
	v_bfe_u32 v7, v1, 20, 11
	v_and_or_b32 v0, v5, s17, v0
	v_sub_u32_e32 v8, 0x3f1, v7
	v_or_b32_e32 v5, 0x1000, v0
	v_med3_i32 v8, v8, 0, 13
	v_lshrrev_b32_e32 v13, v8, v5
	v_lshlrev_b32_e32 v8, v8, v13
	v_cmp_ne_u32_e32 vcc, v8, v5
	v_mul_f16_sdwa v8, v11, v15 dst_sel:DWORD dst_unused:UNUSED_PAD src0_sel:DWORD src1_sel:WORD_1
	v_cndmask_b32_e64 v5, 0, 1, vcc
	v_fma_f16 v8, v15, v21, -v8
	v_or_b32_e32 v5, v13, v5
	v_add_u32_e32 v13, 0xfffffc10, v7
	v_cvt_f32_f16_e32 v8, v8
	v_lshl_or_b32 v7, v13, 12, v0
	v_cmp_gt_i32_e32 vcc, 1, v13
	v_cndmask_b32_e32 v5, v7, v5, vcc
	v_and_b32_e32 v7, 7, v5
	v_cmp_lt_i32_e32 vcc, 5, v7
	v_cmp_eq_u32_e64 s[0:1], 3, v7
	v_cvt_f64_f32_e32 v[7:8], v8
	v_lshrrev_b32_e32 v5, 2, v5
	s_or_b64 vcc, s[0:1], vcc
	v_addc_co_u32_e32 v5, vcc, 0, v5, vcc
	v_mul_f64 v[7:8], v[7:8], s[14:15]
	v_cmp_gt_i32_e32 vcc, 31, v13
	v_cndmask_b32_e32 v5, v6, v5, vcc
	v_cmp_ne_u32_e32 vcc, 0, v0
	v_cndmask_b32_e64 v0, 0, 1, vcc
	v_lshl_or_b32 v0, v0, 9, v6
	v_cmp_eq_u32_e32 vcc, s16, v13
	v_cndmask_b32_e32 v0, v5, v0, vcc
	v_lshrrev_b32_e32 v1, 16, v1
	v_and_or_b32 v11, v1, s10, v0
	v_and_or_b32 v0, v8, s18, v7
	v_cmp_ne_u32_e32 vcc, 0, v0
	v_cndmask_b32_e64 v0, 0, 1, vcc
	v_lshrrev_b32_e32 v1, 8, v8
	v_bfe_u32 v5, v8, 20, 11
	v_and_or_b32 v0, v1, s17, v0
	v_sub_u32_e32 v7, 0x3f1, v5
	v_or_b32_e32 v1, 0x1000, v0
	v_med3_i32 v7, v7, 0, 13
	v_lshrrev_b32_e32 v13, v7, v1
	v_lshlrev_b32_e32 v7, v7, v13
	v_cmp_ne_u32_e32 vcc, v7, v1
	v_cndmask_b32_e64 v1, 0, 1, vcc
	v_add_u32_e32 v5, 0xfffffc10, v5
	v_or_b32_e32 v1, v13, v1
	v_lshl_or_b32 v7, v5, 12, v0
	v_cmp_gt_i32_e32 vcc, 1, v5
	v_cndmask_b32_e32 v1, v7, v1, vcc
	v_and_b32_e32 v7, 7, v1
	v_cmp_lt_i32_e32 vcc, 5, v7
	v_cmp_eq_u32_e64 s[0:1], 3, v7
	v_lshrrev_b32_e32 v1, 2, v1
	s_or_b64 vcc, s[0:1], vcc
	v_addc_co_u32_e32 v1, vcc, 0, v1, vcc
	v_cmp_gt_i32_e32 vcc, 31, v5
	v_lshrrev_b32_e32 v13, 16, v12
	v_cndmask_b32_e32 v7, v6, v1, vcc
	s_waitcnt vmcnt(4)
	v_mul_f16_sdwa v1, v13, v16 dst_sel:DWORD dst_unused:UNUSED_PAD src0_sel:DWORD src1_sel:WORD_1
	v_fma_f16 v1, v12, v16, v1
	v_cvt_f32_f16_e32 v1, v1
	v_cmp_ne_u32_e32 vcc, 0, v0
	v_cndmask_b32_e64 v0, 0, 1, vcc
	v_lshl_or_b32 v14, v0, 9, v6
	v_cvt_f64_f32_e32 v[0:1], v1
	v_cmp_eq_u32_e32 vcc, s16, v5
	v_mad_u64_u32 v[4:5], s[0:1], s8, v4, v[9:10]
	v_mul_f64 v[0:1], v[0:1], s[14:15]
	v_cndmask_b32_e32 v7, v7, v14, vcc
	v_lshrrev_b32_e32 v8, 16, v8
	v_and_or_b32 v7, v8, s10, v7
	v_and_b32_e32 v8, 0xffff, v11
	v_lshl_or_b32 v7, v7, 16, v8
	v_add_u32_e32 v5, s4, v5
	global_store_dword v[4:5], v7, off
	v_and_or_b32 v0, v1, s18, v0
	v_cmp_ne_u32_e32 vcc, 0, v0
	v_cndmask_b32_e64 v0, 0, 1, vcc
	v_lshrrev_b32_e32 v7, 8, v1
	v_bfe_u32 v8, v1, 20, 11
	v_and_or_b32 v0, v7, s17, v0
	v_sub_u32_e32 v9, 0x3f1, v8
	v_or_b32_e32 v7, 0x1000, v0
	v_med3_i32 v9, v9, 0, 13
	v_lshrrev_b32_e32 v10, v9, v7
	v_lshlrev_b32_e32 v9, v9, v10
	v_cmp_ne_u32_e32 vcc, v9, v7
	v_cndmask_b32_e64 v7, 0, 1, vcc
	v_or_b32_e32 v7, v10, v7
	v_mul_f16_sdwa v10, v12, v16 dst_sel:DWORD dst_unused:UNUSED_PAD src0_sel:DWORD src1_sel:WORD_1
	v_fma_f16 v10, v16, v13, -v10
	v_add_u32_e32 v9, 0xfffffc10, v8
	v_cvt_f32_f16_e32 v10, v10
	v_lshl_or_b32 v8, v9, 12, v0
	v_cmp_gt_i32_e32 vcc, 1, v9
	v_cndmask_b32_e32 v7, v8, v7, vcc
	v_and_b32_e32 v8, 7, v7
	v_cmp_lt_i32_e32 vcc, 5, v8
	v_cmp_eq_u32_e64 s[0:1], 3, v8
	v_lshrrev_b32_e32 v11, 2, v7
	v_cvt_f64_f32_e32 v[7:8], v10
	s_or_b64 vcc, s[0:1], vcc
	v_addc_co_u32_e32 v10, vcc, 0, v11, vcc
	v_mul_f64 v[7:8], v[7:8], s[14:15]
	v_cmp_gt_i32_e32 vcc, 31, v9
	v_cndmask_b32_e32 v10, v6, v10, vcc
	v_cmp_ne_u32_e32 vcc, 0, v0
	v_cndmask_b32_e64 v0, 0, 1, vcc
	v_lshl_or_b32 v0, v0, 9, v6
	v_cmp_eq_u32_e32 vcc, s16, v9
	v_cndmask_b32_e32 v0, v10, v0, vcc
	v_lshrrev_b32_e32 v1, 16, v1
	v_and_or_b32 v11, v1, s10, v0
	v_and_or_b32 v0, v8, s18, v7
	v_cmp_ne_u32_e32 vcc, 0, v0
	v_cndmask_b32_e64 v0, 0, 1, vcc
	v_lshrrev_b32_e32 v1, 8, v8
	v_and_or_b32 v7, v1, s17, v0
	v_bfe_u32 v1, v8, 20, 11
	v_sub_u32_e32 v9, 0x3f1, v1
	v_or_b32_e32 v0, 0x1000, v7
	v_med3_i32 v9, v9, 0, 13
	v_lshrrev_b32_e32 v10, v9, v0
	v_lshlrev_b32_e32 v9, v9, v10
	v_cmp_ne_u32_e32 vcc, v9, v0
	v_cndmask_b32_e64 v0, 0, 1, vcc
	v_add_u32_e32 v9, 0xfffffc10, v1
	v_or_b32_e32 v0, v10, v0
	v_lshl_or_b32 v1, v9, 12, v7
	v_cmp_gt_i32_e32 vcc, 1, v9
	v_cndmask_b32_e32 v0, v1, v0, vcc
	v_and_b32_e32 v1, 7, v0
	v_cmp_lt_i32_e32 vcc, 5, v1
	v_cmp_eq_u32_e64 s[0:1], 3, v1
	v_lshrrev_b32_e32 v0, 2, v0
	s_or_b64 vcc, s[0:1], vcc
	v_addc_co_u32_e32 v10, vcc, 0, v0, vcc
	v_add_u32_e32 v0, 0x800, v28
	ds_read2_b32 v[0:1], v0 offset0:16 offset1:64
	v_cmp_gt_i32_e32 vcc, 31, v9
	v_cndmask_b32_e32 v10, v6, v10, vcc
	v_cmp_ne_u32_e32 vcc, 0, v7
	v_cndmask_b32_e64 v7, 0, 1, vcc
	s_waitcnt lgkmcnt(0)
	v_lshrrev_b32_e32 v12, 16, v0
	s_waitcnt vmcnt(4)
	v_mul_f16_sdwa v13, v12, v17 dst_sel:DWORD dst_unused:UNUSED_PAD src0_sel:DWORD src1_sel:WORD_1
	v_fma_f16 v13, v0, v17, v13
	v_cvt_f32_f16_e32 v13, v13
	v_lshl_or_b32 v7, v7, 9, v6
	v_cmp_eq_u32_e32 vcc, s16, v9
	v_cndmask_b32_e32 v7, v10, v7, vcc
	v_cvt_f64_f32_e32 v[9:10], v13
	v_lshrrev_b32_e32 v8, 16, v8
	v_and_or_b32 v13, v8, s10, v7
	v_add_co_u32_e32 v4, vcc, s3, v4
	v_mul_f64 v[7:8], v[9:10], s[14:15]
	v_mov_b32_e32 v10, s2
	v_and_b32_e32 v11, 0xffff, v11
	v_addc_co_u32_e32 v5, vcc, v5, v10, vcc
	v_lshl_or_b32 v9, v13, 16, v11
	global_store_dword v[4:5], v9, off
	v_mul_f16_sdwa v0, v0, v17 dst_sel:DWORD dst_unused:UNUSED_PAD src0_sel:DWORD src1_sel:WORD_1
	v_and_or_b32 v7, v8, s18, v7
	v_cmp_ne_u32_e32 vcc, 0, v7
	v_cndmask_b32_e64 v7, 0, 1, vcc
	v_lshrrev_b32_e32 v9, 8, v8
	v_bfe_u32 v10, v8, 20, 11
	v_and_or_b32 v7, v9, s17, v7
	v_sub_u32_e32 v11, 0x3f1, v10
	v_or_b32_e32 v9, 0x1000, v7
	v_med3_i32 v11, v11, 0, 13
	v_lshrrev_b32_e32 v13, v11, v9
	v_lshlrev_b32_e32 v11, v11, v13
	v_cmp_ne_u32_e32 vcc, v11, v9
	v_fma_f16 v0, v17, v12, -v0
	v_cndmask_b32_e64 v9, 0, 1, vcc
	v_add_u32_e32 v11, 0xfffffc10, v10
	v_cvt_f32_f16_e32 v0, v0
	v_or_b32_e32 v9, v13, v9
	v_lshl_or_b32 v10, v11, 12, v7
	v_cmp_gt_i32_e32 vcc, 1, v11
	v_cndmask_b32_e32 v9, v10, v9, vcc
	v_and_b32_e32 v10, 7, v9
	v_cmp_lt_i32_e32 vcc, 5, v10
	v_cmp_eq_u32_e64 s[0:1], 3, v10
	v_lshrrev_b32_e32 v12, 2, v9
	v_cvt_f64_f32_e32 v[9:10], v0
	s_or_b64 vcc, s[0:1], vcc
	v_addc_co_u32_e32 v0, vcc, 0, v12, vcc
	v_mul_f64 v[9:10], v[9:10], s[14:15]
	v_cmp_gt_i32_e32 vcc, 31, v11
	v_cndmask_b32_e32 v0, v6, v0, vcc
	v_cmp_ne_u32_e32 vcc, 0, v7
	v_cndmask_b32_e64 v7, 0, 1, vcc
	v_lshl_or_b32 v7, v7, 9, v6
	v_cmp_eq_u32_e32 vcc, s16, v11
	v_cndmask_b32_e32 v0, v0, v7, vcc
	v_lshrrev_b32_e32 v7, 16, v8
	v_and_or_b32 v0, v7, s10, v0
	v_and_or_b32 v7, v10, s18, v9
	v_cmp_ne_u32_e32 vcc, 0, v7
	v_cndmask_b32_e64 v7, 0, 1, vcc
	v_lshrrev_b32_e32 v8, 8, v10
	v_bfe_u32 v9, v10, 20, 11
	v_and_or_b32 v7, v8, s17, v7
	v_sub_u32_e32 v11, 0x3f1, v9
	v_or_b32_e32 v8, 0x1000, v7
	v_med3_i32 v11, v11, 0, 13
	v_lshrrev_b32_e32 v12, v11, v8
	v_lshlrev_b32_e32 v11, v11, v12
	v_cmp_ne_u32_e32 vcc, v11, v8
	v_cndmask_b32_e64 v8, 0, 1, vcc
	v_add_u32_e32 v9, 0xfffffc10, v9
	v_or_b32_e32 v8, v12, v8
	v_lshl_or_b32 v11, v9, 12, v7
	v_cmp_gt_i32_e32 vcc, 1, v9
	v_cndmask_b32_e32 v8, v11, v8, vcc
	v_and_b32_e32 v11, 7, v8
	v_cmp_lt_i32_e32 vcc, 5, v11
	v_cmp_eq_u32_e64 s[0:1], 3, v11
	v_lshrrev_b32_e32 v11, 16, v1
	v_lshrrev_b32_e32 v8, 2, v8
	s_or_b64 vcc, s[0:1], vcc
	s_waitcnt vmcnt(4)
	v_mul_f16_sdwa v12, v11, v18 dst_sel:DWORD dst_unused:UNUSED_PAD src0_sel:DWORD src1_sel:WORD_1
	v_addc_co_u32_e32 v8, vcc, 0, v8, vcc
	v_fma_f16 v12, v1, v18, v12
	v_cmp_gt_i32_e32 vcc, 31, v9
	v_cvt_f32_f16_e32 v12, v12
	v_cndmask_b32_e32 v8, v6, v8, vcc
	v_cmp_ne_u32_e32 vcc, 0, v7
	v_cndmask_b32_e64 v7, 0, 1, vcc
	v_lshl_or_b32 v7, v7, 9, v6
	v_cmp_eq_u32_e32 vcc, s16, v9
	v_cndmask_b32_e32 v9, v8, v7, vcc
	v_cvt_f64_f32_e32 v[7:8], v12
	v_lshrrev_b32_e32 v10, 16, v10
	v_and_or_b32 v9, v10, s10, v9
	v_and_b32_e32 v0, 0xffff, v0
	v_mul_f64 v[7:8], v[7:8], s[14:15]
	v_lshl_or_b32 v0, v9, 16, v0
	v_mov_b32_e32 v9, s2
	v_add_co_u32_e32 v4, vcc, s3, v4
	v_addc_co_u32_e32 v5, vcc, v5, v9, vcc
	global_store_dword v[4:5], v0, off
	v_and_or_b32 v0, v8, s18, v7
	v_cmp_ne_u32_e32 vcc, 0, v0
	v_cndmask_b32_e64 v0, 0, 1, vcc
	v_lshrrev_b32_e32 v4, 8, v8
	v_bfe_u32 v5, v8, 20, 11
	v_and_or_b32 v4, v4, s17, v0
	v_sub_u32_e32 v7, 0x3f1, v5
	v_or_b32_e32 v0, 0x1000, v4
	v_med3_i32 v7, v7, 0, 13
	v_lshrrev_b32_e32 v10, v7, v0
	v_lshlrev_b32_e32 v7, v7, v10
	v_mul_f16_sdwa v1, v1, v18 dst_sel:DWORD dst_unused:UNUSED_PAD src0_sel:DWORD src1_sel:WORD_1
	v_cmp_ne_u32_e32 vcc, v7, v0
	v_fma_f16 v1, v18, v11, -v1
	v_cndmask_b32_e64 v0, 0, 1, vcc
	v_add_u32_e32 v5, 0xfffffc10, v5
	v_cvt_f32_f16_e32 v1, v1
	v_or_b32_e32 v0, v10, v0
	v_lshl_or_b32 v7, v5, 12, v4
	v_cmp_gt_i32_e32 vcc, 1, v5
	v_cndmask_b32_e32 v0, v7, v0, vcc
	v_and_b32_e32 v7, 7, v0
	v_cmp_lt_i32_e32 vcc, 5, v7
	v_cmp_eq_u32_e64 s[0:1], 3, v7
	v_lshrrev_b32_e32 v7, 2, v0
	v_cvt_f64_f32_e32 v[0:1], v1
	s_or_b64 vcc, s[0:1], vcc
	v_addc_co_u32_e32 v7, vcc, 0, v7, vcc
	v_mul_f64 v[0:1], v[0:1], s[14:15]
	v_cmp_gt_i32_e32 vcc, 31, v5
	v_cndmask_b32_e32 v7, v6, v7, vcc
	v_cmp_ne_u32_e32 vcc, 0, v4
	v_cndmask_b32_e64 v4, 0, 1, vcc
	v_lshl_or_b32 v4, v4, 9, v6
	v_cmp_eq_u32_e32 vcc, s16, v5
	v_cndmask_b32_e32 v4, v7, v4, vcc
	v_and_or_b32 v0, v1, s18, v0
	v_lshrrev_b32_e32 v5, 16, v8
	v_cmp_ne_u32_e32 vcc, 0, v0
	v_and_or_b32 v7, v5, s10, v4
	v_cndmask_b32_e64 v0, 0, 1, vcc
	v_lshrrev_b32_e32 v4, 8, v1
	v_bfe_u32 v5, v1, 20, 11
	v_and_or_b32 v0, v4, s17, v0
	v_sub_u32_e32 v8, 0x3f1, v5
	v_or_b32_e32 v4, 0x1000, v0
	v_med3_i32 v8, v8, 0, 13
	v_lshrrev_b32_e32 v10, v8, v4
	v_lshlrev_b32_e32 v8, v8, v10
	v_cmp_ne_u32_e32 vcc, v8, v4
	v_cndmask_b32_e64 v4, 0, 1, vcc
	v_add_u32_e32 v8, 0xfffffc10, v5
	v_or_b32_e32 v4, v10, v4
	v_lshl_or_b32 v5, v8, 12, v0
	v_cmp_gt_i32_e32 vcc, 1, v8
	v_cndmask_b32_e32 v4, v5, v4, vcc
	v_and_b32_e32 v5, 7, v4
	v_cmp_lt_i32_e32 vcc, 5, v5
	v_cmp_eq_u32_e64 s[0:1], 3, v5
	v_lshrrev_b32_e32 v4, 2, v4
	s_or_b64 vcc, s[0:1], vcc
	v_addc_co_u32_e32 v4, vcc, 0, v4, vcc
	v_or_b32_e32 v9, 0x240, v26
	v_cmp_gt_i32_e32 vcc, 31, v8
	v_cndmask_b32_e32 v10, v6, v4, vcc
	v_mad_u64_u32 v[4:5], s[0:1], s8, v9, 0
	v_cmp_ne_u32_e32 vcc, 0, v0
	v_cndmask_b32_e64 v0, 0, 1, vcc
	v_lshl_or_b32 v11, v0, 9, v6
	v_mov_b32_e32 v0, v5
	v_mad_u64_u32 v[5:6], s[0:1], s9, v9, v[0:1]
	v_cmp_eq_u32_e32 vcc, s16, v8
	v_cndmask_b32_e32 v0, v10, v11, vcc
	v_lshrrev_b32_e32 v1, 16, v1
	v_and_or_b32 v0, v1, s10, v0
	v_and_b32_e32 v1, 0xffff, v7
	v_lshl_or_b32 v6, v0, 16, v1
	v_lshlrev_b64 v[0:1], 2, v[4:5]
	v_add_co_u32_e32 v0, vcc, v2, v0
	v_addc_co_u32_e32 v1, vcc, v3, v1, vcc
	global_store_dword v[0:1], v6, off
.LBB0_15:
	s_endpgm
	.section	.rodata,"a",@progbits
	.p2align	6, 0x0
	.amdhsa_kernel bluestein_single_fwd_len624_dim1_half_op_CI_CI
		.amdhsa_group_segment_fixed_size 2496
		.amdhsa_private_segment_fixed_size 0
		.amdhsa_kernarg_size 104
		.amdhsa_user_sgpr_count 6
		.amdhsa_user_sgpr_private_segment_buffer 1
		.amdhsa_user_sgpr_dispatch_ptr 0
		.amdhsa_user_sgpr_queue_ptr 0
		.amdhsa_user_sgpr_kernarg_segment_ptr 1
		.amdhsa_user_sgpr_dispatch_id 0
		.amdhsa_user_sgpr_flat_scratch_init 0
		.amdhsa_user_sgpr_private_segment_size 0
		.amdhsa_uses_dynamic_stack 0
		.amdhsa_system_sgpr_private_segment_wavefront_offset 0
		.amdhsa_system_sgpr_workgroup_id_x 1
		.amdhsa_system_sgpr_workgroup_id_y 0
		.amdhsa_system_sgpr_workgroup_id_z 0
		.amdhsa_system_sgpr_workgroup_info 0
		.amdhsa_system_vgpr_workitem_id 0
		.amdhsa_next_free_vgpr 150
		.amdhsa_next_free_sgpr 28
		.amdhsa_reserve_vcc 1
		.amdhsa_reserve_flat_scratch 0
		.amdhsa_float_round_mode_32 0
		.amdhsa_float_round_mode_16_64 0
		.amdhsa_float_denorm_mode_32 3
		.amdhsa_float_denorm_mode_16_64 3
		.amdhsa_dx10_clamp 1
		.amdhsa_ieee_mode 1
		.amdhsa_fp16_overflow 0
		.amdhsa_exception_fp_ieee_invalid_op 0
		.amdhsa_exception_fp_denorm_src 0
		.amdhsa_exception_fp_ieee_div_zero 0
		.amdhsa_exception_fp_ieee_overflow 0
		.amdhsa_exception_fp_ieee_underflow 0
		.amdhsa_exception_fp_ieee_inexact 0
		.amdhsa_exception_int_div_zero 0
	.end_amdhsa_kernel
	.text
.Lfunc_end0:
	.size	bluestein_single_fwd_len624_dim1_half_op_CI_CI, .Lfunc_end0-bluestein_single_fwd_len624_dim1_half_op_CI_CI
                                        ; -- End function
	.section	.AMDGPU.csdata,"",@progbits
; Kernel info:
; codeLenInByte = 20672
; NumSgprs: 32
; NumVgprs: 150
; ScratchSize: 0
; MemoryBound: 0
; FloatMode: 240
; IeeeMode: 1
; LDSByteSize: 2496 bytes/workgroup (compile time only)
; SGPRBlocks: 3
; VGPRBlocks: 37
; NumSGPRsForWavesPerEU: 32
; NumVGPRsForWavesPerEU: 150
; Occupancy: 1
; WaveLimiterHint : 1
; COMPUTE_PGM_RSRC2:SCRATCH_EN: 0
; COMPUTE_PGM_RSRC2:USER_SGPR: 6
; COMPUTE_PGM_RSRC2:TRAP_HANDLER: 0
; COMPUTE_PGM_RSRC2:TGID_X_EN: 1
; COMPUTE_PGM_RSRC2:TGID_Y_EN: 0
; COMPUTE_PGM_RSRC2:TGID_Z_EN: 0
; COMPUTE_PGM_RSRC2:TIDIG_COMP_CNT: 0
	.type	__hip_cuid_f9d23cad2887939f,@object ; @__hip_cuid_f9d23cad2887939f
	.section	.bss,"aw",@nobits
	.globl	__hip_cuid_f9d23cad2887939f
__hip_cuid_f9d23cad2887939f:
	.byte	0                               ; 0x0
	.size	__hip_cuid_f9d23cad2887939f, 1

	.ident	"AMD clang version 19.0.0git (https://github.com/RadeonOpenCompute/llvm-project roc-6.4.0 25133 c7fe45cf4b819c5991fe208aaa96edf142730f1d)"
	.section	".note.GNU-stack","",@progbits
	.addrsig
	.addrsig_sym __hip_cuid_f9d23cad2887939f
	.amdgpu_metadata
---
amdhsa.kernels:
  - .args:
      - .actual_access:  read_only
        .address_space:  global
        .offset:         0
        .size:           8
        .value_kind:     global_buffer
      - .actual_access:  read_only
        .address_space:  global
        .offset:         8
        .size:           8
        .value_kind:     global_buffer
      - .actual_access:  read_only
        .address_space:  global
        .offset:         16
        .size:           8
        .value_kind:     global_buffer
      - .actual_access:  read_only
        .address_space:  global
        .offset:         24
        .size:           8
        .value_kind:     global_buffer
      - .actual_access:  read_only
        .address_space:  global
        .offset:         32
        .size:           8
        .value_kind:     global_buffer
      - .offset:         40
        .size:           8
        .value_kind:     by_value
      - .address_space:  global
        .offset:         48
        .size:           8
        .value_kind:     global_buffer
      - .address_space:  global
        .offset:         56
        .size:           8
        .value_kind:     global_buffer
      - .address_space:  global
        .offset:         64
        .size:           8
        .value_kind:     global_buffer
      - .address_space:  global
        .offset:         72
        .size:           8
        .value_kind:     global_buffer
      - .offset:         80
        .size:           4
        .value_kind:     by_value
      - .address_space:  global
        .offset:         88
        .size:           8
        .value_kind:     global_buffer
      - .address_space:  global
        .offset:         96
        .size:           8
        .value_kind:     global_buffer
    .group_segment_fixed_size: 2496
    .kernarg_segment_align: 8
    .kernarg_segment_size: 104
    .language:       OpenCL C
    .language_version:
      - 2
      - 0
    .max_flat_workgroup_size: 52
    .name:           bluestein_single_fwd_len624_dim1_half_op_CI_CI
    .private_segment_fixed_size: 0
    .sgpr_count:     32
    .sgpr_spill_count: 0
    .symbol:         bluestein_single_fwd_len624_dim1_half_op_CI_CI.kd
    .uniform_work_group_size: 1
    .uses_dynamic_stack: false
    .vgpr_count:     150
    .vgpr_spill_count: 0
    .wavefront_size: 64
amdhsa.target:   amdgcn-amd-amdhsa--gfx906
amdhsa.version:
  - 1
  - 2
...

	.end_amdgpu_metadata
